;; amdgpu-corpus repo=ROCm/rocSPARSE kind=compiled arch=gfx1250 opt=O3
	.amdgcn_target "amdgcn-amd-amdhsa--gfx1250"
	.amdhsa_code_object_version 6
	.section	.text._ZN9rocsparseL12csrgemm_copyILj1024EiiEEvT0_PKT1_PS2_21rocsparse_index_base_S6_,"axG",@progbits,_ZN9rocsparseL12csrgemm_copyILj1024EiiEEvT0_PKT1_PS2_21rocsparse_index_base_S6_,comdat
	.globl	_ZN9rocsparseL12csrgemm_copyILj1024EiiEEvT0_PKT1_PS2_21rocsparse_index_base_S6_ ; -- Begin function _ZN9rocsparseL12csrgemm_copyILj1024EiiEEvT0_PKT1_PS2_21rocsparse_index_base_S6_
	.p2align	8
	.type	_ZN9rocsparseL12csrgemm_copyILj1024EiiEEvT0_PKT1_PS2_21rocsparse_index_base_S6_,@function
_ZN9rocsparseL12csrgemm_copyILj1024EiiEEvT0_PKT1_PS2_21rocsparse_index_base_S6_: ; @_ZN9rocsparseL12csrgemm_copyILj1024EiiEEvT0_PKT1_PS2_21rocsparse_index_base_S6_
; %bb.0:
	s_load_b32 s2, s[0:1], 0x0
	s_bfe_u32 s3, ttmp6, 0x4000c
	s_and_b32 s4, ttmp6, 15
	s_add_co_i32 s3, s3, 1
	s_getreg_b32 s5, hwreg(HW_REG_IB_STS2, 6, 4)
	s_mul_i32 s3, ttmp9, s3
	s_delay_alu instid0(SALU_CYCLE_1) | instskip(SKIP_2) | instid1(SALU_CYCLE_1)
	s_add_co_i32 s4, s4, s3
	s_cmp_eq_u32 s5, 0
	s_cselect_b32 s3, ttmp9, s4
	v_lshl_or_b32 v0, s3, 10, v0
	s_wait_kmcnt 0x0
	s_delay_alu instid0(VALU_DEP_1)
	v_cmp_gt_i32_e32 vcc_lo, s2, v0
	s_and_saveexec_b32 s2, vcc_lo
	s_cbranch_execz .LBB0_2
; %bb.1:
	s_clause 0x1
	s_load_b128 s[4:7], s[0:1], 0x8
	s_load_b64 s[2:3], s[0:1], 0x18
	s_wait_kmcnt 0x0
	global_load_b32 v1, v0, s[4:5] scale_offset
	s_sub_co_i32 s0, s3, s2
	s_wait_loadcnt 0x0
	v_add_nc_u32_e32 v1, s0, v1
	global_store_b32 v0, v1, s[6:7] scale_offset
.LBB0_2:
	s_endpgm
	.section	.rodata,"a",@progbits
	.p2align	6, 0x0
	.amdhsa_kernel _ZN9rocsparseL12csrgemm_copyILj1024EiiEEvT0_PKT1_PS2_21rocsparse_index_base_S6_
		.amdhsa_group_segment_fixed_size 0
		.amdhsa_private_segment_fixed_size 0
		.amdhsa_kernarg_size 32
		.amdhsa_user_sgpr_count 2
		.amdhsa_user_sgpr_dispatch_ptr 0
		.amdhsa_user_sgpr_queue_ptr 0
		.amdhsa_user_sgpr_kernarg_segment_ptr 1
		.amdhsa_user_sgpr_dispatch_id 0
		.amdhsa_user_sgpr_kernarg_preload_length 0
		.amdhsa_user_sgpr_kernarg_preload_offset 0
		.amdhsa_user_sgpr_private_segment_size 0
		.amdhsa_wavefront_size32 1
		.amdhsa_uses_dynamic_stack 0
		.amdhsa_enable_private_segment 0
		.amdhsa_system_sgpr_workgroup_id_x 1
		.amdhsa_system_sgpr_workgroup_id_y 0
		.amdhsa_system_sgpr_workgroup_id_z 0
		.amdhsa_system_sgpr_workgroup_info 0
		.amdhsa_system_vgpr_workitem_id 0
		.amdhsa_next_free_vgpr 2
		.amdhsa_next_free_sgpr 8
		.amdhsa_named_barrier_count 0
		.amdhsa_reserve_vcc 1
		.amdhsa_float_round_mode_32 0
		.amdhsa_float_round_mode_16_64 0
		.amdhsa_float_denorm_mode_32 3
		.amdhsa_float_denorm_mode_16_64 3
		.amdhsa_fp16_overflow 0
		.amdhsa_memory_ordered 1
		.amdhsa_forward_progress 1
		.amdhsa_inst_pref_size 2
		.amdhsa_round_robin_scheduling 0
		.amdhsa_exception_fp_ieee_invalid_op 0
		.amdhsa_exception_fp_denorm_src 0
		.amdhsa_exception_fp_ieee_div_zero 0
		.amdhsa_exception_fp_ieee_overflow 0
		.amdhsa_exception_fp_ieee_underflow 0
		.amdhsa_exception_fp_ieee_inexact 0
		.amdhsa_exception_int_div_zero 0
	.end_amdhsa_kernel
	.section	.text._ZN9rocsparseL12csrgemm_copyILj1024EiiEEvT0_PKT1_PS2_21rocsparse_index_base_S6_,"axG",@progbits,_ZN9rocsparseL12csrgemm_copyILj1024EiiEEvT0_PKT1_PS2_21rocsparse_index_base_S6_,comdat
.Lfunc_end0:
	.size	_ZN9rocsparseL12csrgemm_copyILj1024EiiEEvT0_PKT1_PS2_21rocsparse_index_base_S6_, .Lfunc_end0-_ZN9rocsparseL12csrgemm_copyILj1024EiiEEvT0_PKT1_PS2_21rocsparse_index_base_S6_
                                        ; -- End function
	.set _ZN9rocsparseL12csrgemm_copyILj1024EiiEEvT0_PKT1_PS2_21rocsparse_index_base_S6_.num_vgpr, 2
	.set _ZN9rocsparseL12csrgemm_copyILj1024EiiEEvT0_PKT1_PS2_21rocsparse_index_base_S6_.num_agpr, 0
	.set _ZN9rocsparseL12csrgemm_copyILj1024EiiEEvT0_PKT1_PS2_21rocsparse_index_base_S6_.numbered_sgpr, 8
	.set _ZN9rocsparseL12csrgemm_copyILj1024EiiEEvT0_PKT1_PS2_21rocsparse_index_base_S6_.num_named_barrier, 0
	.set _ZN9rocsparseL12csrgemm_copyILj1024EiiEEvT0_PKT1_PS2_21rocsparse_index_base_S6_.private_seg_size, 0
	.set _ZN9rocsparseL12csrgemm_copyILj1024EiiEEvT0_PKT1_PS2_21rocsparse_index_base_S6_.uses_vcc, 1
	.set _ZN9rocsparseL12csrgemm_copyILj1024EiiEEvT0_PKT1_PS2_21rocsparse_index_base_S6_.uses_flat_scratch, 0
	.set _ZN9rocsparseL12csrgemm_copyILj1024EiiEEvT0_PKT1_PS2_21rocsparse_index_base_S6_.has_dyn_sized_stack, 0
	.set _ZN9rocsparseL12csrgemm_copyILj1024EiiEEvT0_PKT1_PS2_21rocsparse_index_base_S6_.has_recursion, 0
	.set _ZN9rocsparseL12csrgemm_copyILj1024EiiEEvT0_PKT1_PS2_21rocsparse_index_base_S6_.has_indirect_call, 0
	.section	.AMDGPU.csdata,"",@progbits
; Kernel info:
; codeLenInByte = 140
; TotalNumSgprs: 10
; NumVgprs: 2
; ScratchSize: 0
; MemoryBound: 0
; FloatMode: 240
; IeeeMode: 1
; LDSByteSize: 0 bytes/workgroup (compile time only)
; SGPRBlocks: 0
; VGPRBlocks: 0
; NumSGPRsForWavesPerEU: 10
; NumVGPRsForWavesPerEU: 2
; NamedBarCnt: 0
; Occupancy: 16
; WaveLimiterHint : 0
; COMPUTE_PGM_RSRC2:SCRATCH_EN: 0
; COMPUTE_PGM_RSRC2:USER_SGPR: 2
; COMPUTE_PGM_RSRC2:TRAP_HANDLER: 0
; COMPUTE_PGM_RSRC2:TGID_X_EN: 1
; COMPUTE_PGM_RSRC2:TGID_Y_EN: 0
; COMPUTE_PGM_RSRC2:TGID_Z_EN: 0
; COMPUTE_PGM_RSRC2:TIDIG_COMP_CNT: 0
	.section	.text._ZN9rocsparseL18csrgemm_copy_scaleILj1024EifEEvT0_NS_24const_host_device_scalarIT1_EEPKS3_PS3_b,"axG",@progbits,_ZN9rocsparseL18csrgemm_copy_scaleILj1024EifEEvT0_NS_24const_host_device_scalarIT1_EEPKS3_PS3_b,comdat
	.globl	_ZN9rocsparseL18csrgemm_copy_scaleILj1024EifEEvT0_NS_24const_host_device_scalarIT1_EEPKS3_PS3_b ; -- Begin function _ZN9rocsparseL18csrgemm_copy_scaleILj1024EifEEvT0_NS_24const_host_device_scalarIT1_EEPKS3_PS3_b
	.p2align	8
	.type	_ZN9rocsparseL18csrgemm_copy_scaleILj1024EifEEvT0_NS_24const_host_device_scalarIT1_EEPKS3_PS3_b,@function
_ZN9rocsparseL18csrgemm_copy_scaleILj1024EifEEvT0_NS_24const_host_device_scalarIT1_EEPKS3_PS3_b: ; @_ZN9rocsparseL18csrgemm_copy_scaleILj1024EifEEvT0_NS_24const_host_device_scalarIT1_EEPKS3_PS3_b
; %bb.0:
	s_load_b32 s2, s[0:1], 0x0
	s_bfe_u32 s3, ttmp6, 0x4000c
	s_and_b32 s4, ttmp6, 15
	s_add_co_i32 s3, s3, 1
	s_getreg_b32 s5, hwreg(HW_REG_IB_STS2, 6, 4)
	s_mul_i32 s3, ttmp9, s3
	s_delay_alu instid0(SALU_CYCLE_1) | instskip(SKIP_2) | instid1(SALU_CYCLE_1)
	s_add_co_i32 s4, s4, s3
	s_cmp_eq_u32 s5, 0
	s_cselect_b32 s3, ttmp9, s4
	v_lshl_or_b32 v0, s3, 10, v0
	s_wait_kmcnt 0x0
	s_delay_alu instid0(VALU_DEP_1)
	v_cmp_gt_i32_e32 vcc_lo, s2, v0
	s_and_saveexec_b32 s2, vcc_lo
	s_cbranch_execz .LBB1_4
; %bb.1:
	s_clause 0x1
	s_load_b96 s[8:10], s[0:1], 0x18
	s_load_b128 s[4:7], s[0:1], 0x8
	s_wait_kmcnt 0x0
	s_bitcmp1_b32 s10, 0
	s_cselect_b32 s0, -1, 0
	s_delay_alu instid0(SALU_CYCLE_1)
	s_and_b32 vcc_lo, exec_lo, s0
	s_cbranch_vccnz .LBB1_3
; %bb.2:
	s_load_b32 s4, s[4:5], 0x0
.LBB1_3:
	global_load_b32 v1, v0, s[6:7] scale_offset
	s_wait_loadcnt 0x0
	s_wait_kmcnt 0x0
	v_mul_f32_e32 v1, s4, v1
	global_store_b32 v0, v1, s[8:9] scale_offset
.LBB1_4:
	s_endpgm
	.section	.rodata,"a",@progbits
	.p2align	6, 0x0
	.amdhsa_kernel _ZN9rocsparseL18csrgemm_copy_scaleILj1024EifEEvT0_NS_24const_host_device_scalarIT1_EEPKS3_PS3_b
		.amdhsa_group_segment_fixed_size 0
		.amdhsa_private_segment_fixed_size 0
		.amdhsa_kernarg_size 36
		.amdhsa_user_sgpr_count 2
		.amdhsa_user_sgpr_dispatch_ptr 0
		.amdhsa_user_sgpr_queue_ptr 0
		.amdhsa_user_sgpr_kernarg_segment_ptr 1
		.amdhsa_user_sgpr_dispatch_id 0
		.amdhsa_user_sgpr_kernarg_preload_length 0
		.amdhsa_user_sgpr_kernarg_preload_offset 0
		.amdhsa_user_sgpr_private_segment_size 0
		.amdhsa_wavefront_size32 1
		.amdhsa_uses_dynamic_stack 0
		.amdhsa_enable_private_segment 0
		.amdhsa_system_sgpr_workgroup_id_x 1
		.amdhsa_system_sgpr_workgroup_id_y 0
		.amdhsa_system_sgpr_workgroup_id_z 0
		.amdhsa_system_sgpr_workgroup_info 0
		.amdhsa_system_vgpr_workitem_id 0
		.amdhsa_next_free_vgpr 2
		.amdhsa_next_free_sgpr 11
		.amdhsa_named_barrier_count 0
		.amdhsa_reserve_vcc 1
		.amdhsa_float_round_mode_32 0
		.amdhsa_float_round_mode_16_64 0
		.amdhsa_float_denorm_mode_32 3
		.amdhsa_float_denorm_mode_16_64 3
		.amdhsa_fp16_overflow 0
		.amdhsa_memory_ordered 1
		.amdhsa_forward_progress 1
		.amdhsa_inst_pref_size 2
		.amdhsa_round_robin_scheduling 0
		.amdhsa_exception_fp_ieee_invalid_op 0
		.amdhsa_exception_fp_denorm_src 0
		.amdhsa_exception_fp_ieee_div_zero 0
		.amdhsa_exception_fp_ieee_overflow 0
		.amdhsa_exception_fp_ieee_underflow 0
		.amdhsa_exception_fp_ieee_inexact 0
		.amdhsa_exception_int_div_zero 0
	.end_amdhsa_kernel
	.section	.text._ZN9rocsparseL18csrgemm_copy_scaleILj1024EifEEvT0_NS_24const_host_device_scalarIT1_EEPKS3_PS3_b,"axG",@progbits,_ZN9rocsparseL18csrgemm_copy_scaleILj1024EifEEvT0_NS_24const_host_device_scalarIT1_EEPKS3_PS3_b,comdat
.Lfunc_end1:
	.size	_ZN9rocsparseL18csrgemm_copy_scaleILj1024EifEEvT0_NS_24const_host_device_scalarIT1_EEPKS3_PS3_b, .Lfunc_end1-_ZN9rocsparseL18csrgemm_copy_scaleILj1024EifEEvT0_NS_24const_host_device_scalarIT1_EEPKS3_PS3_b
                                        ; -- End function
	.set _ZN9rocsparseL18csrgemm_copy_scaleILj1024EifEEvT0_NS_24const_host_device_scalarIT1_EEPKS3_PS3_b.num_vgpr, 2
	.set _ZN9rocsparseL18csrgemm_copy_scaleILj1024EifEEvT0_NS_24const_host_device_scalarIT1_EEPKS3_PS3_b.num_agpr, 0
	.set _ZN9rocsparseL18csrgemm_copy_scaleILj1024EifEEvT0_NS_24const_host_device_scalarIT1_EEPKS3_PS3_b.numbered_sgpr, 11
	.set _ZN9rocsparseL18csrgemm_copy_scaleILj1024EifEEvT0_NS_24const_host_device_scalarIT1_EEPKS3_PS3_b.num_named_barrier, 0
	.set _ZN9rocsparseL18csrgemm_copy_scaleILj1024EifEEvT0_NS_24const_host_device_scalarIT1_EEPKS3_PS3_b.private_seg_size, 0
	.set _ZN9rocsparseL18csrgemm_copy_scaleILj1024EifEEvT0_NS_24const_host_device_scalarIT1_EEPKS3_PS3_b.uses_vcc, 1
	.set _ZN9rocsparseL18csrgemm_copy_scaleILj1024EifEEvT0_NS_24const_host_device_scalarIT1_EEPKS3_PS3_b.uses_flat_scratch, 0
	.set _ZN9rocsparseL18csrgemm_copy_scaleILj1024EifEEvT0_NS_24const_host_device_scalarIT1_EEPKS3_PS3_b.has_dyn_sized_stack, 0
	.set _ZN9rocsparseL18csrgemm_copy_scaleILj1024EifEEvT0_NS_24const_host_device_scalarIT1_EEPKS3_PS3_b.has_recursion, 0
	.set _ZN9rocsparseL18csrgemm_copy_scaleILj1024EifEEvT0_NS_24const_host_device_scalarIT1_EEPKS3_PS3_b.has_indirect_call, 0
	.section	.AMDGPU.csdata,"",@progbits
; Kernel info:
; codeLenInByte = 168
; TotalNumSgprs: 13
; NumVgprs: 2
; ScratchSize: 0
; MemoryBound: 0
; FloatMode: 240
; IeeeMode: 1
; LDSByteSize: 0 bytes/workgroup (compile time only)
; SGPRBlocks: 0
; VGPRBlocks: 0
; NumSGPRsForWavesPerEU: 13
; NumVGPRsForWavesPerEU: 2
; NamedBarCnt: 0
; Occupancy: 16
; WaveLimiterHint : 0
; COMPUTE_PGM_RSRC2:SCRATCH_EN: 0
; COMPUTE_PGM_RSRC2:USER_SGPR: 2
; COMPUTE_PGM_RSRC2:TRAP_HANDLER: 0
; COMPUTE_PGM_RSRC2:TGID_X_EN: 1
; COMPUTE_PGM_RSRC2:TGID_Y_EN: 0
; COMPUTE_PGM_RSRC2:TGID_Z_EN: 0
; COMPUTE_PGM_RSRC2:TIDIG_COMP_CNT: 0
	.section	.text._ZN9rocsparseL18csrgemm_copy_scaleILj1024EidEEvT0_NS_24const_host_device_scalarIT1_EEPKS3_PS3_b,"axG",@progbits,_ZN9rocsparseL18csrgemm_copy_scaleILj1024EidEEvT0_NS_24const_host_device_scalarIT1_EEPKS3_PS3_b,comdat
	.globl	_ZN9rocsparseL18csrgemm_copy_scaleILj1024EidEEvT0_NS_24const_host_device_scalarIT1_EEPKS3_PS3_b ; -- Begin function _ZN9rocsparseL18csrgemm_copy_scaleILj1024EidEEvT0_NS_24const_host_device_scalarIT1_EEPKS3_PS3_b
	.p2align	8
	.type	_ZN9rocsparseL18csrgemm_copy_scaleILj1024EidEEvT0_NS_24const_host_device_scalarIT1_EEPKS3_PS3_b,@function
_ZN9rocsparseL18csrgemm_copy_scaleILj1024EidEEvT0_NS_24const_host_device_scalarIT1_EEPKS3_PS3_b: ; @_ZN9rocsparseL18csrgemm_copy_scaleILj1024EidEEvT0_NS_24const_host_device_scalarIT1_EEPKS3_PS3_b
; %bb.0:
	s_clause 0x1
	s_load_b32 s4, s[0:1], 0x20
	s_load_b64 s[2:3], s[0:1], 0x8
	s_wait_kmcnt 0x0
	s_bitcmp1_b32 s4, 0
	v_mov_b64_e32 v[2:3], s[2:3]
	s_cselect_b32 s4, -1, 0
	s_delay_alu instid0(SALU_CYCLE_1)
	s_and_b32 vcc_lo, exec_lo, s4
	s_cbranch_vccnz .LBB2_2
; %bb.1:
	v_mov_b32_e32 v1, 0
	flat_load_b64 v[2:3], v1, s[2:3]
.LBB2_2:
	s_wait_xcnt 0x0
	s_load_b32 s2, s[0:1], 0x0
	s_bfe_u32 s3, ttmp6, 0x4000c
	s_and_b32 s4, ttmp6, 15
	s_add_co_i32 s3, s3, 1
	s_getreg_b32 s5, hwreg(HW_REG_IB_STS2, 6, 4)
	s_mul_i32 s3, ttmp9, s3
	s_delay_alu instid0(SALU_CYCLE_1) | instskip(SKIP_2) | instid1(SALU_CYCLE_1)
	s_add_co_i32 s4, s4, s3
	s_cmp_eq_u32 s5, 0
	s_cselect_b32 s3, ttmp9, s4
	v_lshl_or_b32 v0, s3, 10, v0
	s_wait_kmcnt 0x0
	s_delay_alu instid0(VALU_DEP_1)
	v_cmp_gt_i32_e32 vcc_lo, s2, v0
	s_and_saveexec_b32 s2, vcc_lo
	s_cbranch_execz .LBB2_4
; %bb.3:
	s_load_b128 s[0:3], s[0:1], 0x10
	s_wait_kmcnt 0x0
	global_load_b64 v[4:5], v0, s[0:1] scale_offset
	s_wait_loadcnt_dscnt 0x0
	v_mul_f64_e32 v[2:3], v[2:3], v[4:5]
	global_store_b64 v0, v[2:3], s[2:3] scale_offset
.LBB2_4:
	s_endpgm
	.section	.rodata,"a",@progbits
	.p2align	6, 0x0
	.amdhsa_kernel _ZN9rocsparseL18csrgemm_copy_scaleILj1024EidEEvT0_NS_24const_host_device_scalarIT1_EEPKS3_PS3_b
		.amdhsa_group_segment_fixed_size 0
		.amdhsa_private_segment_fixed_size 0
		.amdhsa_kernarg_size 36
		.amdhsa_user_sgpr_count 2
		.amdhsa_user_sgpr_dispatch_ptr 0
		.amdhsa_user_sgpr_queue_ptr 0
		.amdhsa_user_sgpr_kernarg_segment_ptr 1
		.amdhsa_user_sgpr_dispatch_id 0
		.amdhsa_user_sgpr_kernarg_preload_length 0
		.amdhsa_user_sgpr_kernarg_preload_offset 0
		.amdhsa_user_sgpr_private_segment_size 0
		.amdhsa_wavefront_size32 1
		.amdhsa_uses_dynamic_stack 0
		.amdhsa_enable_private_segment 0
		.amdhsa_system_sgpr_workgroup_id_x 1
		.amdhsa_system_sgpr_workgroup_id_y 0
		.amdhsa_system_sgpr_workgroup_id_z 0
		.amdhsa_system_sgpr_workgroup_info 0
		.amdhsa_system_vgpr_workitem_id 0
		.amdhsa_next_free_vgpr 6
		.amdhsa_next_free_sgpr 6
		.amdhsa_named_barrier_count 0
		.amdhsa_reserve_vcc 1
		.amdhsa_float_round_mode_32 0
		.amdhsa_float_round_mode_16_64 0
		.amdhsa_float_denorm_mode_32 3
		.amdhsa_float_denorm_mode_16_64 3
		.amdhsa_fp16_overflow 0
		.amdhsa_memory_ordered 1
		.amdhsa_forward_progress 1
		.amdhsa_inst_pref_size 2
		.amdhsa_round_robin_scheduling 0
		.amdhsa_exception_fp_ieee_invalid_op 0
		.amdhsa_exception_fp_denorm_src 0
		.amdhsa_exception_fp_ieee_div_zero 0
		.amdhsa_exception_fp_ieee_overflow 0
		.amdhsa_exception_fp_ieee_underflow 0
		.amdhsa_exception_fp_ieee_inexact 0
		.amdhsa_exception_int_div_zero 0
	.end_amdhsa_kernel
	.section	.text._ZN9rocsparseL18csrgemm_copy_scaleILj1024EidEEvT0_NS_24const_host_device_scalarIT1_EEPKS3_PS3_b,"axG",@progbits,_ZN9rocsparseL18csrgemm_copy_scaleILj1024EidEEvT0_NS_24const_host_device_scalarIT1_EEPKS3_PS3_b,comdat
.Lfunc_end2:
	.size	_ZN9rocsparseL18csrgemm_copy_scaleILj1024EidEEvT0_NS_24const_host_device_scalarIT1_EEPKS3_PS3_b, .Lfunc_end2-_ZN9rocsparseL18csrgemm_copy_scaleILj1024EidEEvT0_NS_24const_host_device_scalarIT1_EEPKS3_PS3_b
                                        ; -- End function
	.set _ZN9rocsparseL18csrgemm_copy_scaleILj1024EidEEvT0_NS_24const_host_device_scalarIT1_EEPKS3_PS3_b.num_vgpr, 6
	.set _ZN9rocsparseL18csrgemm_copy_scaleILj1024EidEEvT0_NS_24const_host_device_scalarIT1_EEPKS3_PS3_b.num_agpr, 0
	.set _ZN9rocsparseL18csrgemm_copy_scaleILj1024EidEEvT0_NS_24const_host_device_scalarIT1_EEPKS3_PS3_b.numbered_sgpr, 6
	.set _ZN9rocsparseL18csrgemm_copy_scaleILj1024EidEEvT0_NS_24const_host_device_scalarIT1_EEPKS3_PS3_b.num_named_barrier, 0
	.set _ZN9rocsparseL18csrgemm_copy_scaleILj1024EidEEvT0_NS_24const_host_device_scalarIT1_EEPKS3_PS3_b.private_seg_size, 0
	.set _ZN9rocsparseL18csrgemm_copy_scaleILj1024EidEEvT0_NS_24const_host_device_scalarIT1_EEPKS3_PS3_b.uses_vcc, 1
	.set _ZN9rocsparseL18csrgemm_copy_scaleILj1024EidEEvT0_NS_24const_host_device_scalarIT1_EEPKS3_PS3_b.uses_flat_scratch, 0
	.set _ZN9rocsparseL18csrgemm_copy_scaleILj1024EidEEvT0_NS_24const_host_device_scalarIT1_EEPKS3_PS3_b.has_dyn_sized_stack, 0
	.set _ZN9rocsparseL18csrgemm_copy_scaleILj1024EidEEvT0_NS_24const_host_device_scalarIT1_EEPKS3_PS3_b.has_recursion, 0
	.set _ZN9rocsparseL18csrgemm_copy_scaleILj1024EidEEvT0_NS_24const_host_device_scalarIT1_EEPKS3_PS3_b.has_indirect_call, 0
	.section	.AMDGPU.csdata,"",@progbits
; Kernel info:
; codeLenInByte = 192
; TotalNumSgprs: 8
; NumVgprs: 6
; ScratchSize: 0
; MemoryBound: 0
; FloatMode: 240
; IeeeMode: 1
; LDSByteSize: 0 bytes/workgroup (compile time only)
; SGPRBlocks: 0
; VGPRBlocks: 0
; NumSGPRsForWavesPerEU: 8
; NumVGPRsForWavesPerEU: 6
; NamedBarCnt: 0
; Occupancy: 16
; WaveLimiterHint : 0
; COMPUTE_PGM_RSRC2:SCRATCH_EN: 0
; COMPUTE_PGM_RSRC2:USER_SGPR: 2
; COMPUTE_PGM_RSRC2:TRAP_HANDLER: 0
; COMPUTE_PGM_RSRC2:TGID_X_EN: 1
; COMPUTE_PGM_RSRC2:TGID_Y_EN: 0
; COMPUTE_PGM_RSRC2:TGID_Z_EN: 0
; COMPUTE_PGM_RSRC2:TIDIG_COMP_CNT: 0
	.section	.text._ZN9rocsparseL18csrgemm_copy_scaleILj1024Ei21rocsparse_complex_numIfEEEvT0_NS_24const_host_device_scalarIT1_EEPKS5_PS5_b,"axG",@progbits,_ZN9rocsparseL18csrgemm_copy_scaleILj1024Ei21rocsparse_complex_numIfEEEvT0_NS_24const_host_device_scalarIT1_EEPKS5_PS5_b,comdat
	.globl	_ZN9rocsparseL18csrgemm_copy_scaleILj1024Ei21rocsparse_complex_numIfEEEvT0_NS_24const_host_device_scalarIT1_EEPKS5_PS5_b ; -- Begin function _ZN9rocsparseL18csrgemm_copy_scaleILj1024Ei21rocsparse_complex_numIfEEEvT0_NS_24const_host_device_scalarIT1_EEPKS5_PS5_b
	.p2align	8
	.type	_ZN9rocsparseL18csrgemm_copy_scaleILj1024Ei21rocsparse_complex_numIfEEEvT0_NS_24const_host_device_scalarIT1_EEPKS5_PS5_b,@function
_ZN9rocsparseL18csrgemm_copy_scaleILj1024Ei21rocsparse_complex_numIfEEEvT0_NS_24const_host_device_scalarIT1_EEPKS5_PS5_b: ; @_ZN9rocsparseL18csrgemm_copy_scaleILj1024Ei21rocsparse_complex_numIfEEEvT0_NS_24const_host_device_scalarIT1_EEPKS5_PS5_b
; %bb.0:
	s_clause 0x1
	s_load_b32 s4, s[0:1], 0x20
	s_load_b64 s[2:3], s[0:1], 0x8
	s_wait_kmcnt 0x0
	s_bitcmp1_b32 s4, 0
	s_cselect_b32 s4, -1, 0
	s_delay_alu instid0(SALU_CYCLE_1)
	s_xor_b32 s5, s4, -1
	s_and_b32 vcc_lo, exec_lo, s4
	s_mov_b32 s4, s2
	s_cbranch_vccnz .LBB3_2
; %bb.1:
	s_load_b32 s4, s[2:3], 0x0
.LBB3_2:
	s_and_not1_b32 vcc_lo, exec_lo, s5
	s_cbranch_vccnz .LBB3_4
; %bb.3:
	s_wait_xcnt 0x0
	s_load_b32 s3, s[2:3], 0x4
.LBB3_4:
	s_wait_xcnt 0x0
	s_load_b32 s2, s[0:1], 0x0
	s_bfe_u32 s5, ttmp6, 0x4000c
	s_and_b32 s6, ttmp6, 15
	s_add_co_i32 s5, s5, 1
	s_getreg_b32 s7, hwreg(HW_REG_IB_STS2, 6, 4)
	s_mul_i32 s5, ttmp9, s5
	s_delay_alu instid0(SALU_CYCLE_1) | instskip(SKIP_2) | instid1(SALU_CYCLE_1)
	s_add_co_i32 s6, s6, s5
	s_cmp_eq_u32 s7, 0
	s_cselect_b32 s5, ttmp9, s6
	v_lshl_or_b32 v0, s5, 10, v0
	s_wait_kmcnt 0x0
	s_delay_alu instid0(VALU_DEP_1)
	v_cmp_gt_i32_e32 vcc_lo, s2, v0
	s_and_saveexec_b32 s2, vcc_lo
	s_cbranch_execz .LBB3_6
; %bb.5:
	s_load_b128 s[8:11], s[0:1], 0x10
	s_wait_xcnt 0x0
	s_xor_b32 s0, s3, 0x80000000
	s_delay_alu instid0(SALU_CYCLE_1)
	v_dual_mov_b32 v4, s4 :: v_dual_mov_b32 v6, s0
	v_dual_mov_b32 v7, s4 :: v_dual_mov_b32 v5, s3
	s_wait_kmcnt 0x0
	global_load_b64 v[2:3], v0, s[8:9] scale_offset
	s_wait_loadcnt 0x0
	v_pk_mul_f32 v[6:7], v[2:3], v[6:7] op_sel:[1,0]
	s_delay_alu instid0(VALU_DEP_1)
	v_pk_fma_f32 v[2:3], v[4:5], v[2:3], v[6:7] op_sel_hi:[1,0,1]
	global_store_b64 v0, v[2:3], s[10:11] scale_offset
.LBB3_6:
	s_endpgm
	.section	.rodata,"a",@progbits
	.p2align	6, 0x0
	.amdhsa_kernel _ZN9rocsparseL18csrgemm_copy_scaleILj1024Ei21rocsparse_complex_numIfEEEvT0_NS_24const_host_device_scalarIT1_EEPKS5_PS5_b
		.amdhsa_group_segment_fixed_size 0
		.amdhsa_private_segment_fixed_size 0
		.amdhsa_kernarg_size 36
		.amdhsa_user_sgpr_count 2
		.amdhsa_user_sgpr_dispatch_ptr 0
		.amdhsa_user_sgpr_queue_ptr 0
		.amdhsa_user_sgpr_kernarg_segment_ptr 1
		.amdhsa_user_sgpr_dispatch_id 0
		.amdhsa_user_sgpr_kernarg_preload_length 0
		.amdhsa_user_sgpr_kernarg_preload_offset 0
		.amdhsa_user_sgpr_private_segment_size 0
		.amdhsa_wavefront_size32 1
		.amdhsa_uses_dynamic_stack 0
		.amdhsa_enable_private_segment 0
		.amdhsa_system_sgpr_workgroup_id_x 1
		.amdhsa_system_sgpr_workgroup_id_y 0
		.amdhsa_system_sgpr_workgroup_id_z 0
		.amdhsa_system_sgpr_workgroup_info 0
		.amdhsa_system_vgpr_workitem_id 0
		.amdhsa_next_free_vgpr 8
		.amdhsa_next_free_sgpr 12
		.amdhsa_named_barrier_count 0
		.amdhsa_reserve_vcc 1
		.amdhsa_float_round_mode_32 0
		.amdhsa_float_round_mode_16_64 0
		.amdhsa_float_denorm_mode_32 3
		.amdhsa_float_denorm_mode_16_64 3
		.amdhsa_fp16_overflow 0
		.amdhsa_memory_ordered 1
		.amdhsa_forward_progress 1
		.amdhsa_inst_pref_size 3
		.amdhsa_round_robin_scheduling 0
		.amdhsa_exception_fp_ieee_invalid_op 0
		.amdhsa_exception_fp_denorm_src 0
		.amdhsa_exception_fp_ieee_div_zero 0
		.amdhsa_exception_fp_ieee_overflow 0
		.amdhsa_exception_fp_ieee_underflow 0
		.amdhsa_exception_fp_ieee_inexact 0
		.amdhsa_exception_int_div_zero 0
	.end_amdhsa_kernel
	.section	.text._ZN9rocsparseL18csrgemm_copy_scaleILj1024Ei21rocsparse_complex_numIfEEEvT0_NS_24const_host_device_scalarIT1_EEPKS5_PS5_b,"axG",@progbits,_ZN9rocsparseL18csrgemm_copy_scaleILj1024Ei21rocsparse_complex_numIfEEEvT0_NS_24const_host_device_scalarIT1_EEPKS5_PS5_b,comdat
.Lfunc_end3:
	.size	_ZN9rocsparseL18csrgemm_copy_scaleILj1024Ei21rocsparse_complex_numIfEEEvT0_NS_24const_host_device_scalarIT1_EEPKS5_PS5_b, .Lfunc_end3-_ZN9rocsparseL18csrgemm_copy_scaleILj1024Ei21rocsparse_complex_numIfEEEvT0_NS_24const_host_device_scalarIT1_EEPKS5_PS5_b
                                        ; -- End function
	.set _ZN9rocsparseL18csrgemm_copy_scaleILj1024Ei21rocsparse_complex_numIfEEEvT0_NS_24const_host_device_scalarIT1_EEPKS5_PS5_b.num_vgpr, 8
	.set _ZN9rocsparseL18csrgemm_copy_scaleILj1024Ei21rocsparse_complex_numIfEEEvT0_NS_24const_host_device_scalarIT1_EEPKS5_PS5_b.num_agpr, 0
	.set _ZN9rocsparseL18csrgemm_copy_scaleILj1024Ei21rocsparse_complex_numIfEEEvT0_NS_24const_host_device_scalarIT1_EEPKS5_PS5_b.numbered_sgpr, 12
	.set _ZN9rocsparseL18csrgemm_copy_scaleILj1024Ei21rocsparse_complex_numIfEEEvT0_NS_24const_host_device_scalarIT1_EEPKS5_PS5_b.num_named_barrier, 0
	.set _ZN9rocsparseL18csrgemm_copy_scaleILj1024Ei21rocsparse_complex_numIfEEEvT0_NS_24const_host_device_scalarIT1_EEPKS5_PS5_b.private_seg_size, 0
	.set _ZN9rocsparseL18csrgemm_copy_scaleILj1024Ei21rocsparse_complex_numIfEEEvT0_NS_24const_host_device_scalarIT1_EEPKS5_PS5_b.uses_vcc, 1
	.set _ZN9rocsparseL18csrgemm_copy_scaleILj1024Ei21rocsparse_complex_numIfEEEvT0_NS_24const_host_device_scalarIT1_EEPKS5_PS5_b.uses_flat_scratch, 0
	.set _ZN9rocsparseL18csrgemm_copy_scaleILj1024Ei21rocsparse_complex_numIfEEEvT0_NS_24const_host_device_scalarIT1_EEPKS5_PS5_b.has_dyn_sized_stack, 0
	.set _ZN9rocsparseL18csrgemm_copy_scaleILj1024Ei21rocsparse_complex_numIfEEEvT0_NS_24const_host_device_scalarIT1_EEPKS5_PS5_b.has_recursion, 0
	.set _ZN9rocsparseL18csrgemm_copy_scaleILj1024Ei21rocsparse_complex_numIfEEEvT0_NS_24const_host_device_scalarIT1_EEPKS5_PS5_b.has_indirect_call, 0
	.section	.AMDGPU.csdata,"",@progbits
; Kernel info:
; codeLenInByte = 264
; TotalNumSgprs: 14
; NumVgprs: 8
; ScratchSize: 0
; MemoryBound: 0
; FloatMode: 240
; IeeeMode: 1
; LDSByteSize: 0 bytes/workgroup (compile time only)
; SGPRBlocks: 0
; VGPRBlocks: 0
; NumSGPRsForWavesPerEU: 14
; NumVGPRsForWavesPerEU: 8
; NamedBarCnt: 0
; Occupancy: 16
; WaveLimiterHint : 0
; COMPUTE_PGM_RSRC2:SCRATCH_EN: 0
; COMPUTE_PGM_RSRC2:USER_SGPR: 2
; COMPUTE_PGM_RSRC2:TRAP_HANDLER: 0
; COMPUTE_PGM_RSRC2:TGID_X_EN: 1
; COMPUTE_PGM_RSRC2:TGID_Y_EN: 0
; COMPUTE_PGM_RSRC2:TGID_Z_EN: 0
; COMPUTE_PGM_RSRC2:TIDIG_COMP_CNT: 0
	.section	.text._ZN9rocsparseL18csrgemm_copy_scaleILj1024Ei21rocsparse_complex_numIdEEEvT0_NS_24const_host_device_scalarIT1_EEPKS5_PS5_b,"axG",@progbits,_ZN9rocsparseL18csrgemm_copy_scaleILj1024Ei21rocsparse_complex_numIdEEEvT0_NS_24const_host_device_scalarIT1_EEPKS5_PS5_b,comdat
	.globl	_ZN9rocsparseL18csrgemm_copy_scaleILj1024Ei21rocsparse_complex_numIdEEEvT0_NS_24const_host_device_scalarIT1_EEPKS5_PS5_b ; -- Begin function _ZN9rocsparseL18csrgemm_copy_scaleILj1024Ei21rocsparse_complex_numIdEEEvT0_NS_24const_host_device_scalarIT1_EEPKS5_PS5_b
	.p2align	8
	.type	_ZN9rocsparseL18csrgemm_copy_scaleILj1024Ei21rocsparse_complex_numIdEEEvT0_NS_24const_host_device_scalarIT1_EEPKS5_PS5_b,@function
_ZN9rocsparseL18csrgemm_copy_scaleILj1024Ei21rocsparse_complex_numIdEEEvT0_NS_24const_host_device_scalarIT1_EEPKS5_PS5_b: ; @_ZN9rocsparseL18csrgemm_copy_scaleILj1024Ei21rocsparse_complex_numIdEEEvT0_NS_24const_host_device_scalarIT1_EEPKS5_PS5_b
; %bb.0:
	s_clause 0x1
	s_load_b32 s2, s[0:1], 0x28
	s_load_b128 s[4:7], s[0:1], 0x8
	v_mbcnt_lo_u32_b32 v1, -1, 0
	s_delay_alu instid0(VALU_DEP_1) | instskip(NEXT) | instid1(VALU_DEP_1)
	v_dual_mov_b32 v2, 0 :: v_dual_lshlrev_b32 v3, 20, v1
	v_add_nc_u64_e32 v[2:3], src_flat_scratch_base_lo, v[2:3]
	s_wait_kmcnt 0x0
	s_bitcmp1_b32 s2, 0
	v_mov_b64_e32 v[4:5], s[4:5]
	s_cselect_b32 vcc_lo, -1, 0
	s_delay_alu instid0(VALU_DEP_2) | instskip(NEXT) | instid1(VALU_DEP_3)
	v_cndmask_b32_e32 v3, s5, v3, vcc_lo
	v_cndmask_b32_e32 v2, s4, v2, vcc_lo
	s_and_b32 vcc_lo, exec_lo, vcc_lo
	scratch_store_b64 off, v[4:5], off
	s_wait_xcnt 0x0
	v_mov_b64_e32 v[4:5], s[6:7]
	flat_load_b64 v[2:3], v[2:3]
	s_cbranch_vccnz .LBB4_2
; %bb.1:
	v_mov_b32_e32 v1, 0
	flat_load_b64 v[4:5], v1, s[4:5] offset:8
.LBB4_2:
	s_load_b32 s2, s[0:1], 0x0
	s_bfe_u32 s3, ttmp6, 0x4000c
	s_and_b32 s4, ttmp6, 15
	s_add_co_i32 s3, s3, 1
	s_getreg_b32 s5, hwreg(HW_REG_IB_STS2, 6, 4)
	s_mul_i32 s3, ttmp9, s3
	s_delay_alu instid0(SALU_CYCLE_1) | instskip(SKIP_2) | instid1(SALU_CYCLE_1)
	s_add_co_i32 s4, s4, s3
	s_cmp_eq_u32 s5, 0
	s_cselect_b32 s3, ttmp9, s4
	v_lshl_or_b32 v0, s3, 10, v0
	s_wait_kmcnt 0x0
	s_delay_alu instid0(VALU_DEP_1)
	v_cmp_gt_i32_e32 vcc_lo, s2, v0
	s_and_saveexec_b32 s2, vcc_lo
	s_cbranch_execz .LBB4_4
; %bb.3:
	s_load_b128 s[4:7], s[0:1], 0x18
	s_wait_kmcnt 0x0
	global_load_b128 v[6:9], v0, s[4:5] scale_offset
	s_wait_loadcnt_dscnt 0x0
	v_mul_f64_e64 v[10:11], v[8:9], -v[4:5]
	v_mul_f64_e32 v[12:13], v[2:3], v[8:9]
	s_delay_alu instid0(VALU_DEP_2) | instskip(NEXT) | instid1(VALU_DEP_2)
	v_fmac_f64_e32 v[10:11], v[2:3], v[6:7]
	v_fmac_f64_e32 v[12:13], v[4:5], v[6:7]
	global_store_b128 v0, v[10:13], s[6:7] scale_offset
.LBB4_4:
	s_endpgm
	.section	.rodata,"a",@progbits
	.p2align	6, 0x0
	.amdhsa_kernel _ZN9rocsparseL18csrgemm_copy_scaleILj1024Ei21rocsparse_complex_numIdEEEvT0_NS_24const_host_device_scalarIT1_EEPKS5_PS5_b
		.amdhsa_group_segment_fixed_size 0
		.amdhsa_private_segment_fixed_size 16
		.amdhsa_kernarg_size 44
		.amdhsa_user_sgpr_count 2
		.amdhsa_user_sgpr_dispatch_ptr 0
		.amdhsa_user_sgpr_queue_ptr 0
		.amdhsa_user_sgpr_kernarg_segment_ptr 1
		.amdhsa_user_sgpr_dispatch_id 0
		.amdhsa_user_sgpr_kernarg_preload_length 0
		.amdhsa_user_sgpr_kernarg_preload_offset 0
		.amdhsa_user_sgpr_private_segment_size 0
		.amdhsa_wavefront_size32 1
		.amdhsa_uses_dynamic_stack 0
		.amdhsa_enable_private_segment 1
		.amdhsa_system_sgpr_workgroup_id_x 1
		.amdhsa_system_sgpr_workgroup_id_y 0
		.amdhsa_system_sgpr_workgroup_id_z 0
		.amdhsa_system_sgpr_workgroup_info 0
		.amdhsa_system_vgpr_workitem_id 0
		.amdhsa_next_free_vgpr 14
		.amdhsa_next_free_sgpr 8
		.amdhsa_named_barrier_count 0
		.amdhsa_reserve_vcc 1
		.amdhsa_float_round_mode_32 0
		.amdhsa_float_round_mode_16_64 0
		.amdhsa_float_denorm_mode_32 3
		.amdhsa_float_denorm_mode_16_64 3
		.amdhsa_fp16_overflow 0
		.amdhsa_memory_ordered 1
		.amdhsa_forward_progress 1
		.amdhsa_inst_pref_size 3
		.amdhsa_round_robin_scheduling 0
		.amdhsa_exception_fp_ieee_invalid_op 0
		.amdhsa_exception_fp_denorm_src 0
		.amdhsa_exception_fp_ieee_div_zero 0
		.amdhsa_exception_fp_ieee_overflow 0
		.amdhsa_exception_fp_ieee_underflow 0
		.amdhsa_exception_fp_ieee_inexact 0
		.amdhsa_exception_int_div_zero 0
	.end_amdhsa_kernel
	.section	.text._ZN9rocsparseL18csrgemm_copy_scaleILj1024Ei21rocsparse_complex_numIdEEEvT0_NS_24const_host_device_scalarIT1_EEPKS5_PS5_b,"axG",@progbits,_ZN9rocsparseL18csrgemm_copy_scaleILj1024Ei21rocsparse_complex_numIdEEEvT0_NS_24const_host_device_scalarIT1_EEPKS5_PS5_b,comdat
.Lfunc_end4:
	.size	_ZN9rocsparseL18csrgemm_copy_scaleILj1024Ei21rocsparse_complex_numIdEEEvT0_NS_24const_host_device_scalarIT1_EEPKS5_PS5_b, .Lfunc_end4-_ZN9rocsparseL18csrgemm_copy_scaleILj1024Ei21rocsparse_complex_numIdEEEvT0_NS_24const_host_device_scalarIT1_EEPKS5_PS5_b
                                        ; -- End function
	.set _ZN9rocsparseL18csrgemm_copy_scaleILj1024Ei21rocsparse_complex_numIdEEEvT0_NS_24const_host_device_scalarIT1_EEPKS5_PS5_b.num_vgpr, 14
	.set _ZN9rocsparseL18csrgemm_copy_scaleILj1024Ei21rocsparse_complex_numIdEEEvT0_NS_24const_host_device_scalarIT1_EEPKS5_PS5_b.num_agpr, 0
	.set _ZN9rocsparseL18csrgemm_copy_scaleILj1024Ei21rocsparse_complex_numIdEEEvT0_NS_24const_host_device_scalarIT1_EEPKS5_PS5_b.numbered_sgpr, 8
	.set _ZN9rocsparseL18csrgemm_copy_scaleILj1024Ei21rocsparse_complex_numIdEEEvT0_NS_24const_host_device_scalarIT1_EEPKS5_PS5_b.num_named_barrier, 0
	.set _ZN9rocsparseL18csrgemm_copy_scaleILj1024Ei21rocsparse_complex_numIdEEEvT0_NS_24const_host_device_scalarIT1_EEPKS5_PS5_b.private_seg_size, 16
	.set _ZN9rocsparseL18csrgemm_copy_scaleILj1024Ei21rocsparse_complex_numIdEEEvT0_NS_24const_host_device_scalarIT1_EEPKS5_PS5_b.uses_vcc, 1
	.set _ZN9rocsparseL18csrgemm_copy_scaleILj1024Ei21rocsparse_complex_numIdEEEvT0_NS_24const_host_device_scalarIT1_EEPKS5_PS5_b.uses_flat_scratch, 0
	.set _ZN9rocsparseL18csrgemm_copy_scaleILj1024Ei21rocsparse_complex_numIdEEEvT0_NS_24const_host_device_scalarIT1_EEPKS5_PS5_b.has_dyn_sized_stack, 0
	.set _ZN9rocsparseL18csrgemm_copy_scaleILj1024Ei21rocsparse_complex_numIdEEEvT0_NS_24const_host_device_scalarIT1_EEPKS5_PS5_b.has_recursion, 0
	.set _ZN9rocsparseL18csrgemm_copy_scaleILj1024Ei21rocsparse_complex_numIdEEEvT0_NS_24const_host_device_scalarIT1_EEPKS5_PS5_b.has_indirect_call, 0
	.section	.AMDGPU.csdata,"",@progbits
; Kernel info:
; codeLenInByte = 272
; TotalNumSgprs: 10
; NumVgprs: 14
; ScratchSize: 16
; MemoryBound: 0
; FloatMode: 240
; IeeeMode: 1
; LDSByteSize: 0 bytes/workgroup (compile time only)
; SGPRBlocks: 0
; VGPRBlocks: 0
; NumSGPRsForWavesPerEU: 10
; NumVGPRsForWavesPerEU: 14
; NamedBarCnt: 0
; Occupancy: 16
; WaveLimiterHint : 0
; COMPUTE_PGM_RSRC2:SCRATCH_EN: 1
; COMPUTE_PGM_RSRC2:USER_SGPR: 2
; COMPUTE_PGM_RSRC2:TRAP_HANDLER: 0
; COMPUTE_PGM_RSRC2:TGID_X_EN: 1
; COMPUTE_PGM_RSRC2:TGID_Y_EN: 0
; COMPUTE_PGM_RSRC2:TGID_Z_EN: 0
; COMPUTE_PGM_RSRC2:TIDIG_COMP_CNT: 0
	.section	.text._ZN9rocsparseL12csrgemm_copyILj1024EliEEvT0_PKT1_PS2_21rocsparse_index_base_S6_,"axG",@progbits,_ZN9rocsparseL12csrgemm_copyILj1024EliEEvT0_PKT1_PS2_21rocsparse_index_base_S6_,comdat
	.globl	_ZN9rocsparseL12csrgemm_copyILj1024EliEEvT0_PKT1_PS2_21rocsparse_index_base_S6_ ; -- Begin function _ZN9rocsparseL12csrgemm_copyILj1024EliEEvT0_PKT1_PS2_21rocsparse_index_base_S6_
	.p2align	8
	.type	_ZN9rocsparseL12csrgemm_copyILj1024EliEEvT0_PKT1_PS2_21rocsparse_index_base_S6_,@function
_ZN9rocsparseL12csrgemm_copyILj1024EliEEvT0_PKT1_PS2_21rocsparse_index_base_S6_: ; @_ZN9rocsparseL12csrgemm_copyILj1024EliEEvT0_PKT1_PS2_21rocsparse_index_base_S6_
; %bb.0:
	s_load_b64 s[2:3], s[0:1], 0x0
	s_bfe_u32 s4, ttmp6, 0x4000c
	s_and_b32 s5, ttmp6, 15
	s_add_co_i32 s4, s4, 1
	s_getreg_b32 s6, hwreg(HW_REG_IB_STS2, 6, 4)
	s_mul_i32 s4, ttmp9, s4
	v_mov_b32_e32 v1, 0
	s_add_co_i32 s5, s5, s4
	s_cmp_eq_u32 s6, 0
	s_cselect_b32 s4, ttmp9, s5
	s_delay_alu instid0(SALU_CYCLE_1) | instskip(SKIP_1) | instid1(VALU_DEP_1)
	v_lshl_or_b32 v0, s4, 10, v0
	s_wait_kmcnt 0x0
	v_cmp_gt_i64_e32 vcc_lo, s[2:3], v[0:1]
	s_and_saveexec_b32 s2, vcc_lo
	s_cbranch_execz .LBB5_2
; %bb.1:
	s_load_b128 s[4:7], s[0:1], 0x8
	v_lshlrev_b64_e32 v[0:1], 2, v[0:1]
	s_wait_xcnt 0x0
	s_load_b64 s[0:1], s[0:1], 0x18
	s_wait_kmcnt 0x0
	s_delay_alu instid0(VALU_DEP_1)
	v_add_nc_u64_e32 v[2:3], s[4:5], v[0:1]
	v_add_nc_u64_e32 v[0:1], s[6:7], v[0:1]
	s_sub_co_i32 s0, s1, s0
	global_load_b32 v2, v[2:3], off
	s_wait_loadcnt 0x0
	v_add_nc_u32_e32 v2, s0, v2
	global_store_b32 v[0:1], v2, off
.LBB5_2:
	s_endpgm
	.section	.rodata,"a",@progbits
	.p2align	6, 0x0
	.amdhsa_kernel _ZN9rocsparseL12csrgemm_copyILj1024EliEEvT0_PKT1_PS2_21rocsparse_index_base_S6_
		.amdhsa_group_segment_fixed_size 0
		.amdhsa_private_segment_fixed_size 0
		.amdhsa_kernarg_size 32
		.amdhsa_user_sgpr_count 2
		.amdhsa_user_sgpr_dispatch_ptr 0
		.amdhsa_user_sgpr_queue_ptr 0
		.amdhsa_user_sgpr_kernarg_segment_ptr 1
		.amdhsa_user_sgpr_dispatch_id 0
		.amdhsa_user_sgpr_kernarg_preload_length 0
		.amdhsa_user_sgpr_kernarg_preload_offset 0
		.amdhsa_user_sgpr_private_segment_size 0
		.amdhsa_wavefront_size32 1
		.amdhsa_uses_dynamic_stack 0
		.amdhsa_enable_private_segment 0
		.amdhsa_system_sgpr_workgroup_id_x 1
		.amdhsa_system_sgpr_workgroup_id_y 0
		.amdhsa_system_sgpr_workgroup_id_z 0
		.amdhsa_system_sgpr_workgroup_info 0
		.amdhsa_system_vgpr_workitem_id 0
		.amdhsa_next_free_vgpr 4
		.amdhsa_next_free_sgpr 8
		.amdhsa_named_barrier_count 0
		.amdhsa_reserve_vcc 1
		.amdhsa_float_round_mode_32 0
		.amdhsa_float_round_mode_16_64 0
		.amdhsa_float_denorm_mode_32 3
		.amdhsa_float_denorm_mode_16_64 3
		.amdhsa_fp16_overflow 0
		.amdhsa_memory_ordered 1
		.amdhsa_forward_progress 1
		.amdhsa_inst_pref_size 2
		.amdhsa_round_robin_scheduling 0
		.amdhsa_exception_fp_ieee_invalid_op 0
		.amdhsa_exception_fp_denorm_src 0
		.amdhsa_exception_fp_ieee_div_zero 0
		.amdhsa_exception_fp_ieee_overflow 0
		.amdhsa_exception_fp_ieee_underflow 0
		.amdhsa_exception_fp_ieee_inexact 0
		.amdhsa_exception_int_div_zero 0
	.end_amdhsa_kernel
	.section	.text._ZN9rocsparseL12csrgemm_copyILj1024EliEEvT0_PKT1_PS2_21rocsparse_index_base_S6_,"axG",@progbits,_ZN9rocsparseL12csrgemm_copyILj1024EliEEvT0_PKT1_PS2_21rocsparse_index_base_S6_,comdat
.Lfunc_end5:
	.size	_ZN9rocsparseL12csrgemm_copyILj1024EliEEvT0_PKT1_PS2_21rocsparse_index_base_S6_, .Lfunc_end5-_ZN9rocsparseL12csrgemm_copyILj1024EliEEvT0_PKT1_PS2_21rocsparse_index_base_S6_
                                        ; -- End function
	.set _ZN9rocsparseL12csrgemm_copyILj1024EliEEvT0_PKT1_PS2_21rocsparse_index_base_S6_.num_vgpr, 4
	.set _ZN9rocsparseL12csrgemm_copyILj1024EliEEvT0_PKT1_PS2_21rocsparse_index_base_S6_.num_agpr, 0
	.set _ZN9rocsparseL12csrgemm_copyILj1024EliEEvT0_PKT1_PS2_21rocsparse_index_base_S6_.numbered_sgpr, 8
	.set _ZN9rocsparseL12csrgemm_copyILj1024EliEEvT0_PKT1_PS2_21rocsparse_index_base_S6_.num_named_barrier, 0
	.set _ZN9rocsparseL12csrgemm_copyILj1024EliEEvT0_PKT1_PS2_21rocsparse_index_base_S6_.private_seg_size, 0
	.set _ZN9rocsparseL12csrgemm_copyILj1024EliEEvT0_PKT1_PS2_21rocsparse_index_base_S6_.uses_vcc, 1
	.set _ZN9rocsparseL12csrgemm_copyILj1024EliEEvT0_PKT1_PS2_21rocsparse_index_base_S6_.uses_flat_scratch, 0
	.set _ZN9rocsparseL12csrgemm_copyILj1024EliEEvT0_PKT1_PS2_21rocsparse_index_base_S6_.has_dyn_sized_stack, 0
	.set _ZN9rocsparseL12csrgemm_copyILj1024EliEEvT0_PKT1_PS2_21rocsparse_index_base_S6_.has_recursion, 0
	.set _ZN9rocsparseL12csrgemm_copyILj1024EliEEvT0_PKT1_PS2_21rocsparse_index_base_S6_.has_indirect_call, 0
	.section	.AMDGPU.csdata,"",@progbits
; Kernel info:
; codeLenInByte = 156
; TotalNumSgprs: 10
; NumVgprs: 4
; ScratchSize: 0
; MemoryBound: 0
; FloatMode: 240
; IeeeMode: 1
; LDSByteSize: 0 bytes/workgroup (compile time only)
; SGPRBlocks: 0
; VGPRBlocks: 0
; NumSGPRsForWavesPerEU: 10
; NumVGPRsForWavesPerEU: 4
; NamedBarCnt: 0
; Occupancy: 16
; WaveLimiterHint : 0
; COMPUTE_PGM_RSRC2:SCRATCH_EN: 0
; COMPUTE_PGM_RSRC2:USER_SGPR: 2
; COMPUTE_PGM_RSRC2:TRAP_HANDLER: 0
; COMPUTE_PGM_RSRC2:TGID_X_EN: 1
; COMPUTE_PGM_RSRC2:TGID_Y_EN: 0
; COMPUTE_PGM_RSRC2:TGID_Z_EN: 0
; COMPUTE_PGM_RSRC2:TIDIG_COMP_CNT: 0
	.section	.text._ZN9rocsparseL18csrgemm_copy_scaleILj1024ElfEEvT0_NS_24const_host_device_scalarIT1_EEPKS3_PS3_b,"axG",@progbits,_ZN9rocsparseL18csrgemm_copy_scaleILj1024ElfEEvT0_NS_24const_host_device_scalarIT1_EEPKS3_PS3_b,comdat
	.globl	_ZN9rocsparseL18csrgemm_copy_scaleILj1024ElfEEvT0_NS_24const_host_device_scalarIT1_EEPKS3_PS3_b ; -- Begin function _ZN9rocsparseL18csrgemm_copy_scaleILj1024ElfEEvT0_NS_24const_host_device_scalarIT1_EEPKS3_PS3_b
	.p2align	8
	.type	_ZN9rocsparseL18csrgemm_copy_scaleILj1024ElfEEvT0_NS_24const_host_device_scalarIT1_EEPKS3_PS3_b,@function
_ZN9rocsparseL18csrgemm_copy_scaleILj1024ElfEEvT0_NS_24const_host_device_scalarIT1_EEPKS3_PS3_b: ; @_ZN9rocsparseL18csrgemm_copy_scaleILj1024ElfEEvT0_NS_24const_host_device_scalarIT1_EEPKS3_PS3_b
; %bb.0:
	s_load_b128 s[4:7], s[0:1], 0x0
	s_bfe_u32 s2, ttmp6, 0x4000c
	s_and_b32 s3, ttmp6, 15
	s_add_co_i32 s2, s2, 1
	s_getreg_b32 s8, hwreg(HW_REG_IB_STS2, 6, 4)
	s_mul_i32 s2, ttmp9, s2
	v_mov_b32_e32 v1, 0
	s_add_co_i32 s3, s3, s2
	s_cmp_eq_u32 s8, 0
	s_cselect_b32 s2, ttmp9, s3
	s_delay_alu instid0(SALU_CYCLE_1) | instskip(SKIP_2) | instid1(VALU_DEP_1)
	v_lshl_or_b32 v0, s2, 10, v0
	s_mov_b32 s2, exec_lo
	s_wait_kmcnt 0x0
	v_cmpx_gt_i64_e64 s[4:5], v[0:1]
	s_cbranch_execz .LBB6_4
; %bb.1:
	s_clause 0x1
	s_load_b32 s2, s[0:1], 0x20
	s_load_b128 s[8:11], s[0:1], 0x10
	s_wait_kmcnt 0x0
	s_bitcmp1_b32 s2, 0
	s_cselect_b32 s0, -1, 0
	s_delay_alu instid0(SALU_CYCLE_1)
	s_and_b32 vcc_lo, exec_lo, s0
	s_cbranch_vccnz .LBB6_3
; %bb.2:
	s_load_b32 s6, s[6:7], 0x0
.LBB6_3:
	v_lshlrev_b64_e32 v[0:1], 2, v[0:1]
	s_delay_alu instid0(VALU_DEP_1)
	v_add_nc_u64_e32 v[2:3], s[8:9], v[0:1]
	v_add_nc_u64_e32 v[0:1], s[10:11], v[0:1]
	global_load_b32 v2, v[2:3], off
	s_wait_loadcnt 0x0
	s_wait_kmcnt 0x0
	v_mul_f32_e32 v2, s6, v2
	global_store_b32 v[0:1], v2, off
.LBB6_4:
	s_endpgm
	.section	.rodata,"a",@progbits
	.p2align	6, 0x0
	.amdhsa_kernel _ZN9rocsparseL18csrgemm_copy_scaleILj1024ElfEEvT0_NS_24const_host_device_scalarIT1_EEPKS3_PS3_b
		.amdhsa_group_segment_fixed_size 0
		.amdhsa_private_segment_fixed_size 0
		.amdhsa_kernarg_size 36
		.amdhsa_user_sgpr_count 2
		.amdhsa_user_sgpr_dispatch_ptr 0
		.amdhsa_user_sgpr_queue_ptr 0
		.amdhsa_user_sgpr_kernarg_segment_ptr 1
		.amdhsa_user_sgpr_dispatch_id 0
		.amdhsa_user_sgpr_kernarg_preload_length 0
		.amdhsa_user_sgpr_kernarg_preload_offset 0
		.amdhsa_user_sgpr_private_segment_size 0
		.amdhsa_wavefront_size32 1
		.amdhsa_uses_dynamic_stack 0
		.amdhsa_enable_private_segment 0
		.amdhsa_system_sgpr_workgroup_id_x 1
		.amdhsa_system_sgpr_workgroup_id_y 0
		.amdhsa_system_sgpr_workgroup_id_z 0
		.amdhsa_system_sgpr_workgroup_info 0
		.amdhsa_system_vgpr_workitem_id 0
		.amdhsa_next_free_vgpr 4
		.amdhsa_next_free_sgpr 12
		.amdhsa_named_barrier_count 0
		.amdhsa_reserve_vcc 1
		.amdhsa_float_round_mode_32 0
		.amdhsa_float_round_mode_16_64 0
		.amdhsa_float_denorm_mode_32 3
		.amdhsa_float_denorm_mode_16_64 3
		.amdhsa_fp16_overflow 0
		.amdhsa_memory_ordered 1
		.amdhsa_forward_progress 1
		.amdhsa_inst_pref_size 2
		.amdhsa_round_robin_scheduling 0
		.amdhsa_exception_fp_ieee_invalid_op 0
		.amdhsa_exception_fp_denorm_src 0
		.amdhsa_exception_fp_ieee_div_zero 0
		.amdhsa_exception_fp_ieee_overflow 0
		.amdhsa_exception_fp_ieee_underflow 0
		.amdhsa_exception_fp_ieee_inexact 0
		.amdhsa_exception_int_div_zero 0
	.end_amdhsa_kernel
	.section	.text._ZN9rocsparseL18csrgemm_copy_scaleILj1024ElfEEvT0_NS_24const_host_device_scalarIT1_EEPKS3_PS3_b,"axG",@progbits,_ZN9rocsparseL18csrgemm_copy_scaleILj1024ElfEEvT0_NS_24const_host_device_scalarIT1_EEPKS3_PS3_b,comdat
.Lfunc_end6:
	.size	_ZN9rocsparseL18csrgemm_copy_scaleILj1024ElfEEvT0_NS_24const_host_device_scalarIT1_EEPKS3_PS3_b, .Lfunc_end6-_ZN9rocsparseL18csrgemm_copy_scaleILj1024ElfEEvT0_NS_24const_host_device_scalarIT1_EEPKS3_PS3_b
                                        ; -- End function
	.set _ZN9rocsparseL18csrgemm_copy_scaleILj1024ElfEEvT0_NS_24const_host_device_scalarIT1_EEPKS3_PS3_b.num_vgpr, 4
	.set _ZN9rocsparseL18csrgemm_copy_scaleILj1024ElfEEvT0_NS_24const_host_device_scalarIT1_EEPKS3_PS3_b.num_agpr, 0
	.set _ZN9rocsparseL18csrgemm_copy_scaleILj1024ElfEEvT0_NS_24const_host_device_scalarIT1_EEPKS3_PS3_b.numbered_sgpr, 12
	.set _ZN9rocsparseL18csrgemm_copy_scaleILj1024ElfEEvT0_NS_24const_host_device_scalarIT1_EEPKS3_PS3_b.num_named_barrier, 0
	.set _ZN9rocsparseL18csrgemm_copy_scaleILj1024ElfEEvT0_NS_24const_host_device_scalarIT1_EEPKS3_PS3_b.private_seg_size, 0
	.set _ZN9rocsparseL18csrgemm_copy_scaleILj1024ElfEEvT0_NS_24const_host_device_scalarIT1_EEPKS3_PS3_b.uses_vcc, 1
	.set _ZN9rocsparseL18csrgemm_copy_scaleILj1024ElfEEvT0_NS_24const_host_device_scalarIT1_EEPKS3_PS3_b.uses_flat_scratch, 0
	.set _ZN9rocsparseL18csrgemm_copy_scaleILj1024ElfEEvT0_NS_24const_host_device_scalarIT1_EEPKS3_PS3_b.has_dyn_sized_stack, 0
	.set _ZN9rocsparseL18csrgemm_copy_scaleILj1024ElfEEvT0_NS_24const_host_device_scalarIT1_EEPKS3_PS3_b.has_recursion, 0
	.set _ZN9rocsparseL18csrgemm_copy_scaleILj1024ElfEEvT0_NS_24const_host_device_scalarIT1_EEPKS3_PS3_b.has_indirect_call, 0
	.section	.AMDGPU.csdata,"",@progbits
; Kernel info:
; codeLenInByte = 188
; TotalNumSgprs: 14
; NumVgprs: 4
; ScratchSize: 0
; MemoryBound: 0
; FloatMode: 240
; IeeeMode: 1
; LDSByteSize: 0 bytes/workgroup (compile time only)
; SGPRBlocks: 0
; VGPRBlocks: 0
; NumSGPRsForWavesPerEU: 14
; NumVGPRsForWavesPerEU: 4
; NamedBarCnt: 0
; Occupancy: 16
; WaveLimiterHint : 0
; COMPUTE_PGM_RSRC2:SCRATCH_EN: 0
; COMPUTE_PGM_RSRC2:USER_SGPR: 2
; COMPUTE_PGM_RSRC2:TRAP_HANDLER: 0
; COMPUTE_PGM_RSRC2:TGID_X_EN: 1
; COMPUTE_PGM_RSRC2:TGID_Y_EN: 0
; COMPUTE_PGM_RSRC2:TGID_Z_EN: 0
; COMPUTE_PGM_RSRC2:TIDIG_COMP_CNT: 0
	.section	.text._ZN9rocsparseL18csrgemm_copy_scaleILj1024EldEEvT0_NS_24const_host_device_scalarIT1_EEPKS3_PS3_b,"axG",@progbits,_ZN9rocsparseL18csrgemm_copy_scaleILj1024EldEEvT0_NS_24const_host_device_scalarIT1_EEPKS3_PS3_b,comdat
	.globl	_ZN9rocsparseL18csrgemm_copy_scaleILj1024EldEEvT0_NS_24const_host_device_scalarIT1_EEPKS3_PS3_b ; -- Begin function _ZN9rocsparseL18csrgemm_copy_scaleILj1024EldEEvT0_NS_24const_host_device_scalarIT1_EEPKS3_PS3_b
	.p2align	8
	.type	_ZN9rocsparseL18csrgemm_copy_scaleILj1024EldEEvT0_NS_24const_host_device_scalarIT1_EEPKS3_PS3_b,@function
_ZN9rocsparseL18csrgemm_copy_scaleILj1024EldEEvT0_NS_24const_host_device_scalarIT1_EEPKS3_PS3_b: ; @_ZN9rocsparseL18csrgemm_copy_scaleILj1024EldEEvT0_NS_24const_host_device_scalarIT1_EEPKS3_PS3_b
; %bb.0:
	s_clause 0x1
	s_load_b32 s2, s[0:1], 0x20
	s_load_b128 s[4:7], s[0:1], 0x0
	s_wait_kmcnt 0x0
	s_bitcmp1_b32 s2, 0
	v_mov_b64_e32 v[2:3], s[6:7]
	s_cselect_b32 s2, -1, 0
	s_delay_alu instid0(SALU_CYCLE_1)
	s_and_b32 vcc_lo, exec_lo, s2
	s_cbranch_vccnz .LBB7_2
; %bb.1:
	v_mov_b32_e32 v1, 0
	flat_load_b64 v[2:3], v1, s[6:7]
.LBB7_2:
	s_bfe_u32 s2, ttmp6, 0x4000c
	s_and_b32 s3, ttmp6, 15
	s_add_co_i32 s2, s2, 1
	s_wait_xcnt 0x0
	s_getreg_b32 s6, hwreg(HW_REG_IB_STS2, 6, 4)
	s_mul_i32 s2, ttmp9, s2
	v_mov_b32_e32 v1, 0
	s_add_co_i32 s3, s3, s2
	s_cmp_eq_u32 s6, 0
	s_cselect_b32 s2, ttmp9, s3
	s_delay_alu instid0(SALU_CYCLE_1) | instskip(SKIP_1) | instid1(VALU_DEP_1)
	v_lshl_or_b32 v0, s2, 10, v0
	s_mov_b32 s2, exec_lo
	v_cmpx_gt_i64_e64 s[4:5], v[0:1]
	s_cbranch_execz .LBB7_4
; %bb.3:
	s_load_b128 s[0:3], s[0:1], 0x10
	v_lshlrev_b64_e32 v[0:1], 3, v[0:1]
	s_wait_kmcnt 0x0
	s_delay_alu instid0(VALU_DEP_1)
	v_add_nc_u64_e32 v[4:5], s[0:1], v[0:1]
	v_add_nc_u64_e32 v[0:1], s[2:3], v[0:1]
	global_load_b64 v[4:5], v[4:5], off
	s_wait_loadcnt_dscnt 0x0
	v_mul_f64_e32 v[2:3], v[2:3], v[4:5]
	global_store_b64 v[0:1], v[2:3], off
.LBB7_4:
	s_endpgm
	.section	.rodata,"a",@progbits
	.p2align	6, 0x0
	.amdhsa_kernel _ZN9rocsparseL18csrgemm_copy_scaleILj1024EldEEvT0_NS_24const_host_device_scalarIT1_EEPKS3_PS3_b
		.amdhsa_group_segment_fixed_size 0
		.amdhsa_private_segment_fixed_size 0
		.amdhsa_kernarg_size 36
		.amdhsa_user_sgpr_count 2
		.amdhsa_user_sgpr_dispatch_ptr 0
		.amdhsa_user_sgpr_queue_ptr 0
		.amdhsa_user_sgpr_kernarg_segment_ptr 1
		.amdhsa_user_sgpr_dispatch_id 0
		.amdhsa_user_sgpr_kernarg_preload_length 0
		.amdhsa_user_sgpr_kernarg_preload_offset 0
		.amdhsa_user_sgpr_private_segment_size 0
		.amdhsa_wavefront_size32 1
		.amdhsa_uses_dynamic_stack 0
		.amdhsa_enable_private_segment 0
		.amdhsa_system_sgpr_workgroup_id_x 1
		.amdhsa_system_sgpr_workgroup_id_y 0
		.amdhsa_system_sgpr_workgroup_id_z 0
		.amdhsa_system_sgpr_workgroup_info 0
		.amdhsa_system_vgpr_workitem_id 0
		.amdhsa_next_free_vgpr 6
		.amdhsa_next_free_sgpr 8
		.amdhsa_named_barrier_count 0
		.amdhsa_reserve_vcc 1
		.amdhsa_float_round_mode_32 0
		.amdhsa_float_round_mode_16_64 0
		.amdhsa_float_denorm_mode_32 3
		.amdhsa_float_denorm_mode_16_64 3
		.amdhsa_fp16_overflow 0
		.amdhsa_memory_ordered 1
		.amdhsa_forward_progress 1
		.amdhsa_inst_pref_size 2
		.amdhsa_round_robin_scheduling 0
		.amdhsa_exception_fp_ieee_invalid_op 0
		.amdhsa_exception_fp_denorm_src 0
		.amdhsa_exception_fp_ieee_div_zero 0
		.amdhsa_exception_fp_ieee_overflow 0
		.amdhsa_exception_fp_ieee_underflow 0
		.amdhsa_exception_fp_ieee_inexact 0
		.amdhsa_exception_int_div_zero 0
	.end_amdhsa_kernel
	.section	.text._ZN9rocsparseL18csrgemm_copy_scaleILj1024EldEEvT0_NS_24const_host_device_scalarIT1_EEPKS3_PS3_b,"axG",@progbits,_ZN9rocsparseL18csrgemm_copy_scaleILj1024EldEEvT0_NS_24const_host_device_scalarIT1_EEPKS3_PS3_b,comdat
.Lfunc_end7:
	.size	_ZN9rocsparseL18csrgemm_copy_scaleILj1024EldEEvT0_NS_24const_host_device_scalarIT1_EEPKS3_PS3_b, .Lfunc_end7-_ZN9rocsparseL18csrgemm_copy_scaleILj1024EldEEvT0_NS_24const_host_device_scalarIT1_EEPKS3_PS3_b
                                        ; -- End function
	.set _ZN9rocsparseL18csrgemm_copy_scaleILj1024EldEEvT0_NS_24const_host_device_scalarIT1_EEPKS3_PS3_b.num_vgpr, 6
	.set _ZN9rocsparseL18csrgemm_copy_scaleILj1024EldEEvT0_NS_24const_host_device_scalarIT1_EEPKS3_PS3_b.num_agpr, 0
	.set _ZN9rocsparseL18csrgemm_copy_scaleILj1024EldEEvT0_NS_24const_host_device_scalarIT1_EEPKS3_PS3_b.numbered_sgpr, 8
	.set _ZN9rocsparseL18csrgemm_copy_scaleILj1024EldEEvT0_NS_24const_host_device_scalarIT1_EEPKS3_PS3_b.num_named_barrier, 0
	.set _ZN9rocsparseL18csrgemm_copy_scaleILj1024EldEEvT0_NS_24const_host_device_scalarIT1_EEPKS3_PS3_b.private_seg_size, 0
	.set _ZN9rocsparseL18csrgemm_copy_scaleILj1024EldEEvT0_NS_24const_host_device_scalarIT1_EEPKS3_PS3_b.uses_vcc, 1
	.set _ZN9rocsparseL18csrgemm_copy_scaleILj1024EldEEvT0_NS_24const_host_device_scalarIT1_EEPKS3_PS3_b.uses_flat_scratch, 0
	.set _ZN9rocsparseL18csrgemm_copy_scaleILj1024EldEEvT0_NS_24const_host_device_scalarIT1_EEPKS3_PS3_b.has_dyn_sized_stack, 0
	.set _ZN9rocsparseL18csrgemm_copy_scaleILj1024EldEEvT0_NS_24const_host_device_scalarIT1_EEPKS3_PS3_b.has_recursion, 0
	.set _ZN9rocsparseL18csrgemm_copy_scaleILj1024EldEEvT0_NS_24const_host_device_scalarIT1_EEPKS3_PS3_b.has_indirect_call, 0
	.section	.AMDGPU.csdata,"",@progbits
; Kernel info:
; codeLenInByte = 200
; TotalNumSgprs: 10
; NumVgprs: 6
; ScratchSize: 0
; MemoryBound: 0
; FloatMode: 240
; IeeeMode: 1
; LDSByteSize: 0 bytes/workgroup (compile time only)
; SGPRBlocks: 0
; VGPRBlocks: 0
; NumSGPRsForWavesPerEU: 10
; NumVGPRsForWavesPerEU: 6
; NamedBarCnt: 0
; Occupancy: 16
; WaveLimiterHint : 0
; COMPUTE_PGM_RSRC2:SCRATCH_EN: 0
; COMPUTE_PGM_RSRC2:USER_SGPR: 2
; COMPUTE_PGM_RSRC2:TRAP_HANDLER: 0
; COMPUTE_PGM_RSRC2:TGID_X_EN: 1
; COMPUTE_PGM_RSRC2:TGID_Y_EN: 0
; COMPUTE_PGM_RSRC2:TGID_Z_EN: 0
; COMPUTE_PGM_RSRC2:TIDIG_COMP_CNT: 0
	.section	.text._ZN9rocsparseL18csrgemm_copy_scaleILj1024El21rocsparse_complex_numIfEEEvT0_NS_24const_host_device_scalarIT1_EEPKS5_PS5_b,"axG",@progbits,_ZN9rocsparseL18csrgemm_copy_scaleILj1024El21rocsparse_complex_numIfEEEvT0_NS_24const_host_device_scalarIT1_EEPKS5_PS5_b,comdat
	.globl	_ZN9rocsparseL18csrgemm_copy_scaleILj1024El21rocsparse_complex_numIfEEEvT0_NS_24const_host_device_scalarIT1_EEPKS5_PS5_b ; -- Begin function _ZN9rocsparseL18csrgemm_copy_scaleILj1024El21rocsparse_complex_numIfEEEvT0_NS_24const_host_device_scalarIT1_EEPKS5_PS5_b
	.p2align	8
	.type	_ZN9rocsparseL18csrgemm_copy_scaleILj1024El21rocsparse_complex_numIfEEEvT0_NS_24const_host_device_scalarIT1_EEPKS5_PS5_b,@function
_ZN9rocsparseL18csrgemm_copy_scaleILj1024El21rocsparse_complex_numIfEEEvT0_NS_24const_host_device_scalarIT1_EEPKS5_PS5_b: ; @_ZN9rocsparseL18csrgemm_copy_scaleILj1024El21rocsparse_complex_numIfEEEvT0_NS_24const_host_device_scalarIT1_EEPKS5_PS5_b
; %bb.0:
	s_clause 0x1
	s_load_b32 s2, s[0:1], 0x20
	s_load_b128 s[4:7], s[0:1], 0x0
	s_wait_kmcnt 0x0
	s_bitcmp1_b32 s2, 0
	s_cselect_b32 s2, -1, 0
	s_delay_alu instid0(SALU_CYCLE_1)
	s_xor_b32 s3, s2, -1
	s_and_b32 vcc_lo, exec_lo, s2
	s_mov_b32 s2, s6
	s_cbranch_vccnz .LBB8_2
; %bb.1:
	s_load_b32 s2, s[6:7], 0x0
.LBB8_2:
	s_and_not1_b32 vcc_lo, exec_lo, s3
	s_cbranch_vccnz .LBB8_4
; %bb.3:
	s_wait_xcnt 0x0
	s_load_b32 s7, s[6:7], 0x4
.LBB8_4:
	s_bfe_u32 s3, ttmp6, 0x4000c
	s_wait_xcnt 0x0
	s_and_b32 s6, ttmp6, 15
	s_add_co_i32 s3, s3, 1
	s_getreg_b32 s8, hwreg(HW_REG_IB_STS2, 6, 4)
	s_mul_i32 s3, ttmp9, s3
	v_mov_b32_e32 v1, 0
	s_add_co_i32 s6, s6, s3
	s_cmp_eq_u32 s8, 0
	s_cselect_b32 s3, ttmp9, s6
	s_delay_alu instid0(SALU_CYCLE_1) | instskip(SKIP_1) | instid1(VALU_DEP_1)
	v_lshl_or_b32 v0, s3, 10, v0
	s_mov_b32 s3, exec_lo
	v_cmpx_gt_i64_e64 s[4:5], v[0:1]
	s_cbranch_execz .LBB8_6
; %bb.5:
	s_load_b128 s[8:11], s[0:1], 0x10
	v_lshlrev_b64_e32 v[0:1], 3, v[0:1]
	s_wait_kmcnt 0x0
	s_xor_b32 s0, s7, 0x80000000
	s_delay_alu instid0(SALU_CYCLE_1) | instskip(SKIP_1) | instid1(VALU_DEP_3)
	v_dual_mov_b32 v4, s2 :: v_dual_mov_b32 v6, s0
	v_dual_mov_b32 v7, s2 :: v_dual_mov_b32 v5, s7
	v_add_nc_u64_e32 v[2:3], s[8:9], v[0:1]
	v_add_nc_u64_e32 v[0:1], s[10:11], v[0:1]
	global_load_b64 v[2:3], v[2:3], off
	s_wait_loadcnt 0x0
	v_pk_mul_f32 v[6:7], v[2:3], v[6:7] op_sel:[1,0]
	s_delay_alu instid0(VALU_DEP_1)
	v_pk_fma_f32 v[2:3], v[4:5], v[2:3], v[6:7] op_sel_hi:[1,0,1]
	global_store_b64 v[0:1], v[2:3], off
.LBB8_6:
	s_endpgm
	.section	.rodata,"a",@progbits
	.p2align	6, 0x0
	.amdhsa_kernel _ZN9rocsparseL18csrgemm_copy_scaleILj1024El21rocsparse_complex_numIfEEEvT0_NS_24const_host_device_scalarIT1_EEPKS5_PS5_b
		.amdhsa_group_segment_fixed_size 0
		.amdhsa_private_segment_fixed_size 0
		.amdhsa_kernarg_size 36
		.amdhsa_user_sgpr_count 2
		.amdhsa_user_sgpr_dispatch_ptr 0
		.amdhsa_user_sgpr_queue_ptr 0
		.amdhsa_user_sgpr_kernarg_segment_ptr 1
		.amdhsa_user_sgpr_dispatch_id 0
		.amdhsa_user_sgpr_kernarg_preload_length 0
		.amdhsa_user_sgpr_kernarg_preload_offset 0
		.amdhsa_user_sgpr_private_segment_size 0
		.amdhsa_wavefront_size32 1
		.amdhsa_uses_dynamic_stack 0
		.amdhsa_enable_private_segment 0
		.amdhsa_system_sgpr_workgroup_id_x 1
		.amdhsa_system_sgpr_workgroup_id_y 0
		.amdhsa_system_sgpr_workgroup_id_z 0
		.amdhsa_system_sgpr_workgroup_info 0
		.amdhsa_system_vgpr_workitem_id 0
		.amdhsa_next_free_vgpr 8
		.amdhsa_next_free_sgpr 12
		.amdhsa_named_barrier_count 0
		.amdhsa_reserve_vcc 1
		.amdhsa_float_round_mode_32 0
		.amdhsa_float_round_mode_16_64 0
		.amdhsa_float_denorm_mode_32 3
		.amdhsa_float_denorm_mode_16_64 3
		.amdhsa_fp16_overflow 0
		.amdhsa_memory_ordered 1
		.amdhsa_forward_progress 1
		.amdhsa_inst_pref_size 3
		.amdhsa_round_robin_scheduling 0
		.amdhsa_exception_fp_ieee_invalid_op 0
		.amdhsa_exception_fp_denorm_src 0
		.amdhsa_exception_fp_ieee_div_zero 0
		.amdhsa_exception_fp_ieee_overflow 0
		.amdhsa_exception_fp_ieee_underflow 0
		.amdhsa_exception_fp_ieee_inexact 0
		.amdhsa_exception_int_div_zero 0
	.end_amdhsa_kernel
	.section	.text._ZN9rocsparseL18csrgemm_copy_scaleILj1024El21rocsparse_complex_numIfEEEvT0_NS_24const_host_device_scalarIT1_EEPKS5_PS5_b,"axG",@progbits,_ZN9rocsparseL18csrgemm_copy_scaleILj1024El21rocsparse_complex_numIfEEEvT0_NS_24const_host_device_scalarIT1_EEPKS5_PS5_b,comdat
.Lfunc_end8:
	.size	_ZN9rocsparseL18csrgemm_copy_scaleILj1024El21rocsparse_complex_numIfEEEvT0_NS_24const_host_device_scalarIT1_EEPKS5_PS5_b, .Lfunc_end8-_ZN9rocsparseL18csrgemm_copy_scaleILj1024El21rocsparse_complex_numIfEEEvT0_NS_24const_host_device_scalarIT1_EEPKS5_PS5_b
                                        ; -- End function
	.set _ZN9rocsparseL18csrgemm_copy_scaleILj1024El21rocsparse_complex_numIfEEEvT0_NS_24const_host_device_scalarIT1_EEPKS5_PS5_b.num_vgpr, 8
	.set _ZN9rocsparseL18csrgemm_copy_scaleILj1024El21rocsparse_complex_numIfEEEvT0_NS_24const_host_device_scalarIT1_EEPKS5_PS5_b.num_agpr, 0
	.set _ZN9rocsparseL18csrgemm_copy_scaleILj1024El21rocsparse_complex_numIfEEEvT0_NS_24const_host_device_scalarIT1_EEPKS5_PS5_b.numbered_sgpr, 12
	.set _ZN9rocsparseL18csrgemm_copy_scaleILj1024El21rocsparse_complex_numIfEEEvT0_NS_24const_host_device_scalarIT1_EEPKS5_PS5_b.num_named_barrier, 0
	.set _ZN9rocsparseL18csrgemm_copy_scaleILj1024El21rocsparse_complex_numIfEEEvT0_NS_24const_host_device_scalarIT1_EEPKS5_PS5_b.private_seg_size, 0
	.set _ZN9rocsparseL18csrgemm_copy_scaleILj1024El21rocsparse_complex_numIfEEEvT0_NS_24const_host_device_scalarIT1_EEPKS5_PS5_b.uses_vcc, 1
	.set _ZN9rocsparseL18csrgemm_copy_scaleILj1024El21rocsparse_complex_numIfEEEvT0_NS_24const_host_device_scalarIT1_EEPKS5_PS5_b.uses_flat_scratch, 0
	.set _ZN9rocsparseL18csrgemm_copy_scaleILj1024El21rocsparse_complex_numIfEEEvT0_NS_24const_host_device_scalarIT1_EEPKS5_PS5_b.has_dyn_sized_stack, 0
	.set _ZN9rocsparseL18csrgemm_copy_scaleILj1024El21rocsparse_complex_numIfEEEvT0_NS_24const_host_device_scalarIT1_EEPKS5_PS5_b.has_recursion, 0
	.set _ZN9rocsparseL18csrgemm_copy_scaleILj1024El21rocsparse_complex_numIfEEEvT0_NS_24const_host_device_scalarIT1_EEPKS5_PS5_b.has_indirect_call, 0
	.section	.AMDGPU.csdata,"",@progbits
; Kernel info:
; codeLenInByte = 264
; TotalNumSgprs: 14
; NumVgprs: 8
; ScratchSize: 0
; MemoryBound: 0
; FloatMode: 240
; IeeeMode: 1
; LDSByteSize: 0 bytes/workgroup (compile time only)
; SGPRBlocks: 0
; VGPRBlocks: 0
; NumSGPRsForWavesPerEU: 14
; NumVGPRsForWavesPerEU: 8
; NamedBarCnt: 0
; Occupancy: 16
; WaveLimiterHint : 0
; COMPUTE_PGM_RSRC2:SCRATCH_EN: 0
; COMPUTE_PGM_RSRC2:USER_SGPR: 2
; COMPUTE_PGM_RSRC2:TRAP_HANDLER: 0
; COMPUTE_PGM_RSRC2:TGID_X_EN: 1
; COMPUTE_PGM_RSRC2:TGID_Y_EN: 0
; COMPUTE_PGM_RSRC2:TGID_Z_EN: 0
; COMPUTE_PGM_RSRC2:TIDIG_COMP_CNT: 0
	.section	.text._ZN9rocsparseL18csrgemm_copy_scaleILj1024El21rocsparse_complex_numIdEEEvT0_NS_24const_host_device_scalarIT1_EEPKS5_PS5_b,"axG",@progbits,_ZN9rocsparseL18csrgemm_copy_scaleILj1024El21rocsparse_complex_numIdEEEvT0_NS_24const_host_device_scalarIT1_EEPKS5_PS5_b,comdat
	.globl	_ZN9rocsparseL18csrgemm_copy_scaleILj1024El21rocsparse_complex_numIdEEEvT0_NS_24const_host_device_scalarIT1_EEPKS5_PS5_b ; -- Begin function _ZN9rocsparseL18csrgemm_copy_scaleILj1024El21rocsparse_complex_numIdEEEvT0_NS_24const_host_device_scalarIT1_EEPKS5_PS5_b
	.p2align	8
	.type	_ZN9rocsparseL18csrgemm_copy_scaleILj1024El21rocsparse_complex_numIdEEEvT0_NS_24const_host_device_scalarIT1_EEPKS5_PS5_b,@function
_ZN9rocsparseL18csrgemm_copy_scaleILj1024El21rocsparse_complex_numIdEEEvT0_NS_24const_host_device_scalarIT1_EEPKS5_PS5_b: ; @_ZN9rocsparseL18csrgemm_copy_scaleILj1024El21rocsparse_complex_numIdEEEvT0_NS_24const_host_device_scalarIT1_EEPKS5_PS5_b
; %bb.0:
	s_clause 0x1
	s_load_b32 s8, s[0:1], 0x28
	s_load_b128 s[4:7], s[0:1], 0x0
	v_mbcnt_lo_u32_b32 v1, -1, 0
	s_load_b64 s[2:3], s[0:1], 0x10
	s_delay_alu instid0(VALU_DEP_1) | instskip(NEXT) | instid1(VALU_DEP_1)
	v_dual_mov_b32 v2, 0 :: v_dual_lshlrev_b32 v3, 20, v1
	v_add_nc_u64_e32 v[2:3], src_flat_scratch_base_lo, v[2:3]
	s_wait_kmcnt 0x0
	s_bitcmp1_b32 s8, 0
	v_mov_b64_e32 v[4:5], s[6:7]
	s_cselect_b32 vcc_lo, -1, 0
	s_delay_alu instid0(VALU_DEP_2) | instskip(NEXT) | instid1(VALU_DEP_3)
	v_cndmask_b32_e32 v3, s7, v3, vcc_lo
	v_cndmask_b32_e32 v2, s6, v2, vcc_lo
	s_and_b32 vcc_lo, exec_lo, vcc_lo
	scratch_store_b64 off, v[4:5], off
	s_wait_xcnt 0x0
	v_mov_b64_e32 v[4:5], s[2:3]
	flat_load_b64 v[2:3], v[2:3]
	s_cbranch_vccnz .LBB9_2
; %bb.1:
	v_mov_b32_e32 v1, 0
	flat_load_b64 v[4:5], v1, s[6:7] offset:8
.LBB9_2:
	s_bfe_u32 s2, ttmp6, 0x4000c
	s_and_b32 s3, ttmp6, 15
	s_add_co_i32 s2, s2, 1
	s_wait_xcnt 0x0
	s_getreg_b32 s6, hwreg(HW_REG_IB_STS2, 6, 4)
	s_mul_i32 s2, ttmp9, s2
	v_mov_b32_e32 v1, 0
	s_add_co_i32 s3, s3, s2
	s_cmp_eq_u32 s6, 0
	s_cselect_b32 s2, ttmp9, s3
	s_delay_alu instid0(SALU_CYCLE_1) | instskip(SKIP_1) | instid1(VALU_DEP_1)
	v_lshl_or_b32 v0, s2, 10, v0
	s_mov_b32 s2, exec_lo
	v_cmpx_gt_i64_e64 s[4:5], v[0:1]
	s_cbranch_execz .LBB9_4
; %bb.3:
	s_load_b128 s[4:7], s[0:1], 0x18
	v_lshlrev_b64_e32 v[0:1], 4, v[0:1]
	s_wait_kmcnt 0x0
	s_delay_alu instid0(VALU_DEP_1)
	v_add_nc_u64_e32 v[6:7], s[4:5], v[0:1]
	v_add_nc_u64_e32 v[0:1], s[6:7], v[0:1]
	global_load_b128 v[6:9], v[6:7], off
	s_wait_loadcnt_dscnt 0x0
	v_mul_f64_e64 v[10:11], v[8:9], -v[4:5]
	v_mul_f64_e32 v[12:13], v[2:3], v[8:9]
	s_delay_alu instid0(VALU_DEP_2) | instskip(NEXT) | instid1(VALU_DEP_2)
	v_fmac_f64_e32 v[10:11], v[2:3], v[6:7]
	v_fmac_f64_e32 v[12:13], v[4:5], v[6:7]
	global_store_b128 v[0:1], v[10:13], off
.LBB9_4:
	s_endpgm
	.section	.rodata,"a",@progbits
	.p2align	6, 0x0
	.amdhsa_kernel _ZN9rocsparseL18csrgemm_copy_scaleILj1024El21rocsparse_complex_numIdEEEvT0_NS_24const_host_device_scalarIT1_EEPKS5_PS5_b
		.amdhsa_group_segment_fixed_size 0
		.amdhsa_private_segment_fixed_size 16
		.amdhsa_kernarg_size 44
		.amdhsa_user_sgpr_count 2
		.amdhsa_user_sgpr_dispatch_ptr 0
		.amdhsa_user_sgpr_queue_ptr 0
		.amdhsa_user_sgpr_kernarg_segment_ptr 1
		.amdhsa_user_sgpr_dispatch_id 0
		.amdhsa_user_sgpr_kernarg_preload_length 0
		.amdhsa_user_sgpr_kernarg_preload_offset 0
		.amdhsa_user_sgpr_private_segment_size 0
		.amdhsa_wavefront_size32 1
		.amdhsa_uses_dynamic_stack 0
		.amdhsa_enable_private_segment 1
		.amdhsa_system_sgpr_workgroup_id_x 1
		.amdhsa_system_sgpr_workgroup_id_y 0
		.amdhsa_system_sgpr_workgroup_id_z 0
		.amdhsa_system_sgpr_workgroup_info 0
		.amdhsa_system_vgpr_workitem_id 0
		.amdhsa_next_free_vgpr 14
		.amdhsa_next_free_sgpr 9
		.amdhsa_named_barrier_count 0
		.amdhsa_reserve_vcc 1
		.amdhsa_float_round_mode_32 0
		.amdhsa_float_round_mode_16_64 0
		.amdhsa_float_denorm_mode_32 3
		.amdhsa_float_denorm_mode_16_64 3
		.amdhsa_fp16_overflow 0
		.amdhsa_memory_ordered 1
		.amdhsa_forward_progress 1
		.amdhsa_inst_pref_size 3
		.amdhsa_round_robin_scheduling 0
		.amdhsa_exception_fp_ieee_invalid_op 0
		.amdhsa_exception_fp_denorm_src 0
		.amdhsa_exception_fp_ieee_div_zero 0
		.amdhsa_exception_fp_ieee_overflow 0
		.amdhsa_exception_fp_ieee_underflow 0
		.amdhsa_exception_fp_ieee_inexact 0
		.amdhsa_exception_int_div_zero 0
	.end_amdhsa_kernel
	.section	.text._ZN9rocsparseL18csrgemm_copy_scaleILj1024El21rocsparse_complex_numIdEEEvT0_NS_24const_host_device_scalarIT1_EEPKS5_PS5_b,"axG",@progbits,_ZN9rocsparseL18csrgemm_copy_scaleILj1024El21rocsparse_complex_numIdEEEvT0_NS_24const_host_device_scalarIT1_EEPKS5_PS5_b,comdat
.Lfunc_end9:
	.size	_ZN9rocsparseL18csrgemm_copy_scaleILj1024El21rocsparse_complex_numIdEEEvT0_NS_24const_host_device_scalarIT1_EEPKS5_PS5_b, .Lfunc_end9-_ZN9rocsparseL18csrgemm_copy_scaleILj1024El21rocsparse_complex_numIdEEEvT0_NS_24const_host_device_scalarIT1_EEPKS5_PS5_b
                                        ; -- End function
	.set _ZN9rocsparseL18csrgemm_copy_scaleILj1024El21rocsparse_complex_numIdEEEvT0_NS_24const_host_device_scalarIT1_EEPKS5_PS5_b.num_vgpr, 14
	.set _ZN9rocsparseL18csrgemm_copy_scaleILj1024El21rocsparse_complex_numIdEEEvT0_NS_24const_host_device_scalarIT1_EEPKS5_PS5_b.num_agpr, 0
	.set _ZN9rocsparseL18csrgemm_copy_scaleILj1024El21rocsparse_complex_numIdEEEvT0_NS_24const_host_device_scalarIT1_EEPKS5_PS5_b.numbered_sgpr, 9
	.set _ZN9rocsparseL18csrgemm_copy_scaleILj1024El21rocsparse_complex_numIdEEEvT0_NS_24const_host_device_scalarIT1_EEPKS5_PS5_b.num_named_barrier, 0
	.set _ZN9rocsparseL18csrgemm_copy_scaleILj1024El21rocsparse_complex_numIdEEEvT0_NS_24const_host_device_scalarIT1_EEPKS5_PS5_b.private_seg_size, 16
	.set _ZN9rocsparseL18csrgemm_copy_scaleILj1024El21rocsparse_complex_numIdEEEvT0_NS_24const_host_device_scalarIT1_EEPKS5_PS5_b.uses_vcc, 1
	.set _ZN9rocsparseL18csrgemm_copy_scaleILj1024El21rocsparse_complex_numIdEEEvT0_NS_24const_host_device_scalarIT1_EEPKS5_PS5_b.uses_flat_scratch, 0
	.set _ZN9rocsparseL18csrgemm_copy_scaleILj1024El21rocsparse_complex_numIdEEEvT0_NS_24const_host_device_scalarIT1_EEPKS5_PS5_b.has_dyn_sized_stack, 0
	.set _ZN9rocsparseL18csrgemm_copy_scaleILj1024El21rocsparse_complex_numIdEEEvT0_NS_24const_host_device_scalarIT1_EEPKS5_PS5_b.has_recursion, 0
	.set _ZN9rocsparseL18csrgemm_copy_scaleILj1024El21rocsparse_complex_numIdEEEvT0_NS_24const_host_device_scalarIT1_EEPKS5_PS5_b.has_indirect_call, 0
	.section	.AMDGPU.csdata,"",@progbits
; Kernel info:
; codeLenInByte = 292
; TotalNumSgprs: 11
; NumVgprs: 14
; ScratchSize: 16
; MemoryBound: 0
; FloatMode: 240
; IeeeMode: 1
; LDSByteSize: 0 bytes/workgroup (compile time only)
; SGPRBlocks: 0
; VGPRBlocks: 0
; NumSGPRsForWavesPerEU: 11
; NumVGPRsForWavesPerEU: 14
; NamedBarCnt: 0
; Occupancy: 16
; WaveLimiterHint : 0
; COMPUTE_PGM_RSRC2:SCRATCH_EN: 1
; COMPUTE_PGM_RSRC2:USER_SGPR: 2
; COMPUTE_PGM_RSRC2:TRAP_HANDLER: 0
; COMPUTE_PGM_RSRC2:TGID_X_EN: 1
; COMPUTE_PGM_RSRC2:TGID_Y_EN: 0
; COMPUTE_PGM_RSRC2:TGID_Z_EN: 0
; COMPUTE_PGM_RSRC2:TIDIG_COMP_CNT: 0
	.section	.text._ZN9rocsparseL12csrgemm_copyILj1024EilEEvT0_PKT1_PS2_21rocsparse_index_base_S6_,"axG",@progbits,_ZN9rocsparseL12csrgemm_copyILj1024EilEEvT0_PKT1_PS2_21rocsparse_index_base_S6_,comdat
	.globl	_ZN9rocsparseL12csrgemm_copyILj1024EilEEvT0_PKT1_PS2_21rocsparse_index_base_S6_ ; -- Begin function _ZN9rocsparseL12csrgemm_copyILj1024EilEEvT0_PKT1_PS2_21rocsparse_index_base_S6_
	.p2align	8
	.type	_ZN9rocsparseL12csrgemm_copyILj1024EilEEvT0_PKT1_PS2_21rocsparse_index_base_S6_,@function
_ZN9rocsparseL12csrgemm_copyILj1024EilEEvT0_PKT1_PS2_21rocsparse_index_base_S6_: ; @_ZN9rocsparseL12csrgemm_copyILj1024EilEEvT0_PKT1_PS2_21rocsparse_index_base_S6_
; %bb.0:
	s_load_b32 s2, s[0:1], 0x0
	s_bfe_u32 s3, ttmp6, 0x4000c
	s_and_b32 s4, ttmp6, 15
	s_add_co_i32 s3, s3, 1
	s_getreg_b32 s5, hwreg(HW_REG_IB_STS2, 6, 4)
	s_mul_i32 s3, ttmp9, s3
	s_delay_alu instid0(SALU_CYCLE_1) | instskip(SKIP_2) | instid1(SALU_CYCLE_1)
	s_add_co_i32 s4, s4, s3
	s_cmp_eq_u32 s5, 0
	s_cselect_b32 s3, ttmp9, s4
	v_lshl_or_b32 v0, s3, 10, v0
	s_mov_b32 s3, 0
	s_wait_kmcnt 0x0
	s_delay_alu instid0(VALU_DEP_1)
	v_cmp_gt_i32_e32 vcc_lo, s2, v0
	s_and_saveexec_b32 s2, vcc_lo
	s_cbranch_execz .LBB10_2
; %bb.1:
	s_clause 0x1
	s_load_b128 s[4:7], s[0:1], 0x8
	s_load_b64 s[8:9], s[0:1], 0x18
	s_wait_kmcnt 0x0
	global_load_b64 v[2:3], v0, s[4:5] scale_offset
	s_mov_b32 s2, s9
	s_mov_b32 s9, s3
	s_delay_alu instid0(SALU_CYCLE_1)
	s_sub_nc_u64 s[0:1], s[2:3], s[8:9]
	s_wait_loadcnt 0x0
	v_add_nc_u64_e32 v[2:3], s[0:1], v[2:3]
	global_store_b64 v0, v[2:3], s[6:7] scale_offset
.LBB10_2:
	s_endpgm
	.section	.rodata,"a",@progbits
	.p2align	6, 0x0
	.amdhsa_kernel _ZN9rocsparseL12csrgemm_copyILj1024EilEEvT0_PKT1_PS2_21rocsparse_index_base_S6_
		.amdhsa_group_segment_fixed_size 0
		.amdhsa_private_segment_fixed_size 0
		.amdhsa_kernarg_size 32
		.amdhsa_user_sgpr_count 2
		.amdhsa_user_sgpr_dispatch_ptr 0
		.amdhsa_user_sgpr_queue_ptr 0
		.amdhsa_user_sgpr_kernarg_segment_ptr 1
		.amdhsa_user_sgpr_dispatch_id 0
		.amdhsa_user_sgpr_kernarg_preload_length 0
		.amdhsa_user_sgpr_kernarg_preload_offset 0
		.amdhsa_user_sgpr_private_segment_size 0
		.amdhsa_wavefront_size32 1
		.amdhsa_uses_dynamic_stack 0
		.amdhsa_enable_private_segment 0
		.amdhsa_system_sgpr_workgroup_id_x 1
		.amdhsa_system_sgpr_workgroup_id_y 0
		.amdhsa_system_sgpr_workgroup_id_z 0
		.amdhsa_system_sgpr_workgroup_info 0
		.amdhsa_system_vgpr_workitem_id 0
		.amdhsa_next_free_vgpr 4
		.amdhsa_next_free_sgpr 10
		.amdhsa_named_barrier_count 0
		.amdhsa_reserve_vcc 1
		.amdhsa_float_round_mode_32 0
		.amdhsa_float_round_mode_16_64 0
		.amdhsa_float_denorm_mode_32 3
		.amdhsa_float_denorm_mode_16_64 3
		.amdhsa_fp16_overflow 0
		.amdhsa_memory_ordered 1
		.amdhsa_forward_progress 1
		.amdhsa_inst_pref_size 2
		.amdhsa_round_robin_scheduling 0
		.amdhsa_exception_fp_ieee_invalid_op 0
		.amdhsa_exception_fp_denorm_src 0
		.amdhsa_exception_fp_ieee_div_zero 0
		.amdhsa_exception_fp_ieee_overflow 0
		.amdhsa_exception_fp_ieee_underflow 0
		.amdhsa_exception_fp_ieee_inexact 0
		.amdhsa_exception_int_div_zero 0
	.end_amdhsa_kernel
	.section	.text._ZN9rocsparseL12csrgemm_copyILj1024EilEEvT0_PKT1_PS2_21rocsparse_index_base_S6_,"axG",@progbits,_ZN9rocsparseL12csrgemm_copyILj1024EilEEvT0_PKT1_PS2_21rocsparse_index_base_S6_,comdat
.Lfunc_end10:
	.size	_ZN9rocsparseL12csrgemm_copyILj1024EilEEvT0_PKT1_PS2_21rocsparse_index_base_S6_, .Lfunc_end10-_ZN9rocsparseL12csrgemm_copyILj1024EilEEvT0_PKT1_PS2_21rocsparse_index_base_S6_
                                        ; -- End function
	.set _ZN9rocsparseL12csrgemm_copyILj1024EilEEvT0_PKT1_PS2_21rocsparse_index_base_S6_.num_vgpr, 4
	.set _ZN9rocsparseL12csrgemm_copyILj1024EilEEvT0_PKT1_PS2_21rocsparse_index_base_S6_.num_agpr, 0
	.set _ZN9rocsparseL12csrgemm_copyILj1024EilEEvT0_PKT1_PS2_21rocsparse_index_base_S6_.numbered_sgpr, 10
	.set _ZN9rocsparseL12csrgemm_copyILj1024EilEEvT0_PKT1_PS2_21rocsparse_index_base_S6_.num_named_barrier, 0
	.set _ZN9rocsparseL12csrgemm_copyILj1024EilEEvT0_PKT1_PS2_21rocsparse_index_base_S6_.private_seg_size, 0
	.set _ZN9rocsparseL12csrgemm_copyILj1024EilEEvT0_PKT1_PS2_21rocsparse_index_base_S6_.uses_vcc, 1
	.set _ZN9rocsparseL12csrgemm_copyILj1024EilEEvT0_PKT1_PS2_21rocsparse_index_base_S6_.uses_flat_scratch, 0
	.set _ZN9rocsparseL12csrgemm_copyILj1024EilEEvT0_PKT1_PS2_21rocsparse_index_base_S6_.has_dyn_sized_stack, 0
	.set _ZN9rocsparseL12csrgemm_copyILj1024EilEEvT0_PKT1_PS2_21rocsparse_index_base_S6_.has_recursion, 0
	.set _ZN9rocsparseL12csrgemm_copyILj1024EilEEvT0_PKT1_PS2_21rocsparse_index_base_S6_.has_indirect_call, 0
	.section	.AMDGPU.csdata,"",@progbits
; Kernel info:
; codeLenInByte = 156
; TotalNumSgprs: 12
; NumVgprs: 4
; ScratchSize: 0
; MemoryBound: 0
; FloatMode: 240
; IeeeMode: 1
; LDSByteSize: 0 bytes/workgroup (compile time only)
; SGPRBlocks: 0
; VGPRBlocks: 0
; NumSGPRsForWavesPerEU: 12
; NumVGPRsForWavesPerEU: 4
; NamedBarCnt: 0
; Occupancy: 16
; WaveLimiterHint : 0
; COMPUTE_PGM_RSRC2:SCRATCH_EN: 0
; COMPUTE_PGM_RSRC2:USER_SGPR: 2
; COMPUTE_PGM_RSRC2:TRAP_HANDLER: 0
; COMPUTE_PGM_RSRC2:TGID_X_EN: 1
; COMPUTE_PGM_RSRC2:TGID_Y_EN: 0
; COMPUTE_PGM_RSRC2:TGID_Z_EN: 0
; COMPUTE_PGM_RSRC2:TIDIG_COMP_CNT: 0
	.section	.text._ZN9rocsparseL12csrgemm_copyILj1024EllEEvT0_PKT1_PS2_21rocsparse_index_base_S6_,"axG",@progbits,_ZN9rocsparseL12csrgemm_copyILj1024EllEEvT0_PKT1_PS2_21rocsparse_index_base_S6_,comdat
	.globl	_ZN9rocsparseL12csrgemm_copyILj1024EllEEvT0_PKT1_PS2_21rocsparse_index_base_S6_ ; -- Begin function _ZN9rocsparseL12csrgemm_copyILj1024EllEEvT0_PKT1_PS2_21rocsparse_index_base_S6_
	.p2align	8
	.type	_ZN9rocsparseL12csrgemm_copyILj1024EllEEvT0_PKT1_PS2_21rocsparse_index_base_S6_,@function
_ZN9rocsparseL12csrgemm_copyILj1024EllEEvT0_PKT1_PS2_21rocsparse_index_base_S6_: ; @_ZN9rocsparseL12csrgemm_copyILj1024EllEEvT0_PKT1_PS2_21rocsparse_index_base_S6_
; %bb.0:
	s_load_b64 s[2:3], s[0:1], 0x0
	s_bfe_u32 s4, ttmp6, 0x4000c
	s_and_b32 s5, ttmp6, 15
	s_add_co_i32 s4, s4, 1
	s_getreg_b32 s6, hwreg(HW_REG_IB_STS2, 6, 4)
	s_mul_i32 s4, ttmp9, s4
	v_mov_b32_e32 v1, 0
	s_add_co_i32 s5, s5, s4
	s_cmp_eq_u32 s6, 0
	s_cselect_b32 s4, ttmp9, s5
	s_delay_alu instid0(SALU_CYCLE_1) | instskip(SKIP_1) | instid1(VALU_DEP_1)
	v_lshl_or_b32 v0, s4, 10, v0
	s_wait_kmcnt 0x0
	v_cmp_gt_i64_e32 vcc_lo, s[2:3], v[0:1]
	s_mov_b32 s3, 0
	s_and_saveexec_b32 s2, vcc_lo
	s_cbranch_execz .LBB11_2
; %bb.1:
	s_load_b128 s[4:7], s[0:1], 0x8
	v_lshlrev_b64_e32 v[0:1], 3, v[0:1]
	s_wait_xcnt 0x0
	s_load_b64 s[0:1], s[0:1], 0x18
	s_wait_kmcnt 0x0
	s_delay_alu instid0(VALU_DEP_1) | instskip(SKIP_3) | instid1(SALU_CYCLE_1)
	v_add_nc_u64_e32 v[2:3], s[4:5], v[0:1]
	v_add_nc_u64_e32 v[0:1], s[6:7], v[0:1]
	s_mov_b32 s2, s1
	s_mov_b32 s1, s3
	s_sub_nc_u64 s[0:1], s[2:3], s[0:1]
	global_load_b64 v[2:3], v[2:3], off
	s_wait_loadcnt 0x0
	v_add_nc_u64_e32 v[2:3], s[0:1], v[2:3]
	global_store_b64 v[0:1], v[2:3], off
.LBB11_2:
	s_endpgm
	.section	.rodata,"a",@progbits
	.p2align	6, 0x0
	.amdhsa_kernel _ZN9rocsparseL12csrgemm_copyILj1024EllEEvT0_PKT1_PS2_21rocsparse_index_base_S6_
		.amdhsa_group_segment_fixed_size 0
		.amdhsa_private_segment_fixed_size 0
		.amdhsa_kernarg_size 32
		.amdhsa_user_sgpr_count 2
		.amdhsa_user_sgpr_dispatch_ptr 0
		.amdhsa_user_sgpr_queue_ptr 0
		.amdhsa_user_sgpr_kernarg_segment_ptr 1
		.amdhsa_user_sgpr_dispatch_id 0
		.amdhsa_user_sgpr_kernarg_preload_length 0
		.amdhsa_user_sgpr_kernarg_preload_offset 0
		.amdhsa_user_sgpr_private_segment_size 0
		.amdhsa_wavefront_size32 1
		.amdhsa_uses_dynamic_stack 0
		.amdhsa_enable_private_segment 0
		.amdhsa_system_sgpr_workgroup_id_x 1
		.amdhsa_system_sgpr_workgroup_id_y 0
		.amdhsa_system_sgpr_workgroup_id_z 0
		.amdhsa_system_sgpr_workgroup_info 0
		.amdhsa_system_vgpr_workitem_id 0
		.amdhsa_next_free_vgpr 4
		.amdhsa_next_free_sgpr 8
		.amdhsa_named_barrier_count 0
		.amdhsa_reserve_vcc 1
		.amdhsa_float_round_mode_32 0
		.amdhsa_float_round_mode_16_64 0
		.amdhsa_float_denorm_mode_32 3
		.amdhsa_float_denorm_mode_16_64 3
		.amdhsa_fp16_overflow 0
		.amdhsa_memory_ordered 1
		.amdhsa_forward_progress 1
		.amdhsa_inst_pref_size 2
		.amdhsa_round_robin_scheduling 0
		.amdhsa_exception_fp_ieee_invalid_op 0
		.amdhsa_exception_fp_denorm_src 0
		.amdhsa_exception_fp_ieee_div_zero 0
		.amdhsa_exception_fp_ieee_overflow 0
		.amdhsa_exception_fp_ieee_underflow 0
		.amdhsa_exception_fp_ieee_inexact 0
		.amdhsa_exception_int_div_zero 0
	.end_amdhsa_kernel
	.section	.text._ZN9rocsparseL12csrgemm_copyILj1024EllEEvT0_PKT1_PS2_21rocsparse_index_base_S6_,"axG",@progbits,_ZN9rocsparseL12csrgemm_copyILj1024EllEEvT0_PKT1_PS2_21rocsparse_index_base_S6_,comdat
.Lfunc_end11:
	.size	_ZN9rocsparseL12csrgemm_copyILj1024EllEEvT0_PKT1_PS2_21rocsparse_index_base_S6_, .Lfunc_end11-_ZN9rocsparseL12csrgemm_copyILj1024EllEEvT0_PKT1_PS2_21rocsparse_index_base_S6_
                                        ; -- End function
	.set _ZN9rocsparseL12csrgemm_copyILj1024EllEEvT0_PKT1_PS2_21rocsparse_index_base_S6_.num_vgpr, 4
	.set _ZN9rocsparseL12csrgemm_copyILj1024EllEEvT0_PKT1_PS2_21rocsparse_index_base_S6_.num_agpr, 0
	.set _ZN9rocsparseL12csrgemm_copyILj1024EllEEvT0_PKT1_PS2_21rocsparse_index_base_S6_.numbered_sgpr, 8
	.set _ZN9rocsparseL12csrgemm_copyILj1024EllEEvT0_PKT1_PS2_21rocsparse_index_base_S6_.num_named_barrier, 0
	.set _ZN9rocsparseL12csrgemm_copyILj1024EllEEvT0_PKT1_PS2_21rocsparse_index_base_S6_.private_seg_size, 0
	.set _ZN9rocsparseL12csrgemm_copyILj1024EllEEvT0_PKT1_PS2_21rocsparse_index_base_S6_.uses_vcc, 1
	.set _ZN9rocsparseL12csrgemm_copyILj1024EllEEvT0_PKT1_PS2_21rocsparse_index_base_S6_.uses_flat_scratch, 0
	.set _ZN9rocsparseL12csrgemm_copyILj1024EllEEvT0_PKT1_PS2_21rocsparse_index_base_S6_.has_dyn_sized_stack, 0
	.set _ZN9rocsparseL12csrgemm_copyILj1024EllEEvT0_PKT1_PS2_21rocsparse_index_base_S6_.has_recursion, 0
	.set _ZN9rocsparseL12csrgemm_copyILj1024EllEEvT0_PKT1_PS2_21rocsparse_index_base_S6_.has_indirect_call, 0
	.section	.AMDGPU.csdata,"",@progbits
; Kernel info:
; codeLenInByte = 168
; TotalNumSgprs: 10
; NumVgprs: 4
; ScratchSize: 0
; MemoryBound: 0
; FloatMode: 240
; IeeeMode: 1
; LDSByteSize: 0 bytes/workgroup (compile time only)
; SGPRBlocks: 0
; VGPRBlocks: 0
; NumSGPRsForWavesPerEU: 10
; NumVGPRsForWavesPerEU: 4
; NamedBarCnt: 0
; Occupancy: 16
; WaveLimiterHint : 0
; COMPUTE_PGM_RSRC2:SCRATCH_EN: 0
; COMPUTE_PGM_RSRC2:USER_SGPR: 2
; COMPUTE_PGM_RSRC2:TRAP_HANDLER: 0
; COMPUTE_PGM_RSRC2:TGID_X_EN: 1
; COMPUTE_PGM_RSRC2:TGID_Y_EN: 0
; COMPUTE_PGM_RSRC2:TGID_Z_EN: 0
; COMPUTE_PGM_RSRC2:TIDIG_COMP_CNT: 0
	.section	.AMDGPU.gpr_maximums,"",@progbits
	.set amdgpu.max_num_vgpr, 0
	.set amdgpu.max_num_agpr, 0
	.set amdgpu.max_num_sgpr, 0
	.section	.AMDGPU.csdata,"",@progbits
	.type	__hip_cuid_80f11aad89257ed1,@object ; @__hip_cuid_80f11aad89257ed1
	.section	.bss,"aw",@nobits
	.globl	__hip_cuid_80f11aad89257ed1
__hip_cuid_80f11aad89257ed1:
	.byte	0                               ; 0x0
	.size	__hip_cuid_80f11aad89257ed1, 1

	.ident	"AMD clang version 22.0.0git (https://github.com/RadeonOpenCompute/llvm-project roc-7.2.4 26084 f58b06dce1f9c15707c5f808fd002e18c2accf7e)"
	.section	".note.GNU-stack","",@progbits
	.addrsig
	.addrsig_sym __hip_cuid_80f11aad89257ed1
	.amdgpu_metadata
---
amdhsa.kernels:
  - .args:
      - .offset:         0
        .size:           4
        .value_kind:     by_value
      - .actual_access:  read_only
        .address_space:  global
        .offset:         8
        .size:           8
        .value_kind:     global_buffer
      - .actual_access:  write_only
        .address_space:  global
        .offset:         16
        .size:           8
        .value_kind:     global_buffer
      - .offset:         24
        .size:           4
        .value_kind:     by_value
      - .offset:         28
        .size:           4
        .value_kind:     by_value
    .group_segment_fixed_size: 0
    .kernarg_segment_align: 8
    .kernarg_segment_size: 32
    .language:       OpenCL C
    .language_version:
      - 2
      - 0
    .max_flat_workgroup_size: 1024
    .name:           _ZN9rocsparseL12csrgemm_copyILj1024EiiEEvT0_PKT1_PS2_21rocsparse_index_base_S6_
    .private_segment_fixed_size: 0
    .sgpr_count:     10
    .sgpr_spill_count: 0
    .symbol:         _ZN9rocsparseL12csrgemm_copyILj1024EiiEEvT0_PKT1_PS2_21rocsparse_index_base_S6_.kd
    .uniform_work_group_size: 1
    .uses_dynamic_stack: false
    .vgpr_count:     2
    .vgpr_spill_count: 0
    .wavefront_size: 32
  - .args:
      - .offset:         0
        .size:           4
        .value_kind:     by_value
      - .offset:         8
        .size:           8
        .value_kind:     by_value
      - .actual_access:  read_only
        .address_space:  global
        .offset:         16
        .size:           8
        .value_kind:     global_buffer
      - .actual_access:  write_only
        .address_space:  global
        .offset:         24
        .size:           8
        .value_kind:     global_buffer
      - .offset:         32
        .size:           1
        .value_kind:     by_value
    .group_segment_fixed_size: 0
    .kernarg_segment_align: 8
    .kernarg_segment_size: 36
    .language:       OpenCL C
    .language_version:
      - 2
      - 0
    .max_flat_workgroup_size: 1024
    .name:           _ZN9rocsparseL18csrgemm_copy_scaleILj1024EifEEvT0_NS_24const_host_device_scalarIT1_EEPKS3_PS3_b
    .private_segment_fixed_size: 0
    .sgpr_count:     13
    .sgpr_spill_count: 0
    .symbol:         _ZN9rocsparseL18csrgemm_copy_scaleILj1024EifEEvT0_NS_24const_host_device_scalarIT1_EEPKS3_PS3_b.kd
    .uniform_work_group_size: 1
    .uses_dynamic_stack: false
    .vgpr_count:     2
    .vgpr_spill_count: 0
    .wavefront_size: 32
  - .args:
      - .offset:         0
        .size:           4
        .value_kind:     by_value
      - .offset:         8
        .size:           8
        .value_kind:     by_value
      - .actual_access:  read_only
        .address_space:  global
        .offset:         16
        .size:           8
        .value_kind:     global_buffer
      - .actual_access:  write_only
        .address_space:  global
        .offset:         24
        .size:           8
        .value_kind:     global_buffer
      - .offset:         32
        .size:           1
        .value_kind:     by_value
    .group_segment_fixed_size: 0
    .kernarg_segment_align: 8
    .kernarg_segment_size: 36
    .language:       OpenCL C
    .language_version:
      - 2
      - 0
    .max_flat_workgroup_size: 1024
    .name:           _ZN9rocsparseL18csrgemm_copy_scaleILj1024EidEEvT0_NS_24const_host_device_scalarIT1_EEPKS3_PS3_b
    .private_segment_fixed_size: 0
    .sgpr_count:     8
    .sgpr_spill_count: 0
    .symbol:         _ZN9rocsparseL18csrgemm_copy_scaleILj1024EidEEvT0_NS_24const_host_device_scalarIT1_EEPKS3_PS3_b.kd
    .uniform_work_group_size: 1
    .uses_dynamic_stack: false
    .vgpr_count:     6
    .vgpr_spill_count: 0
    .wavefront_size: 32
  - .args:
      - .offset:         0
        .size:           4
        .value_kind:     by_value
      - .offset:         8
        .size:           8
        .value_kind:     by_value
      - .actual_access:  read_only
        .address_space:  global
        .offset:         16
        .size:           8
        .value_kind:     global_buffer
      - .actual_access:  write_only
        .address_space:  global
        .offset:         24
        .size:           8
        .value_kind:     global_buffer
      - .offset:         32
        .size:           1
        .value_kind:     by_value
    .group_segment_fixed_size: 0
    .kernarg_segment_align: 8
    .kernarg_segment_size: 36
    .language:       OpenCL C
    .language_version:
      - 2
      - 0
    .max_flat_workgroup_size: 1024
    .name:           _ZN9rocsparseL18csrgemm_copy_scaleILj1024Ei21rocsparse_complex_numIfEEEvT0_NS_24const_host_device_scalarIT1_EEPKS5_PS5_b
    .private_segment_fixed_size: 0
    .sgpr_count:     14
    .sgpr_spill_count: 0
    .symbol:         _ZN9rocsparseL18csrgemm_copy_scaleILj1024Ei21rocsparse_complex_numIfEEEvT0_NS_24const_host_device_scalarIT1_EEPKS5_PS5_b.kd
    .uniform_work_group_size: 1
    .uses_dynamic_stack: false
    .vgpr_count:     8
    .vgpr_spill_count: 0
    .wavefront_size: 32
  - .args:
      - .offset:         0
        .size:           4
        .value_kind:     by_value
      - .offset:         8
        .size:           16
        .value_kind:     by_value
      - .actual_access:  read_only
        .address_space:  global
        .offset:         24
        .size:           8
        .value_kind:     global_buffer
      - .actual_access:  write_only
        .address_space:  global
        .offset:         32
        .size:           8
        .value_kind:     global_buffer
      - .offset:         40
        .size:           1
        .value_kind:     by_value
    .group_segment_fixed_size: 0
    .kernarg_segment_align: 8
    .kernarg_segment_size: 44
    .language:       OpenCL C
    .language_version:
      - 2
      - 0
    .max_flat_workgroup_size: 1024
    .name:           _ZN9rocsparseL18csrgemm_copy_scaleILj1024Ei21rocsparse_complex_numIdEEEvT0_NS_24const_host_device_scalarIT1_EEPKS5_PS5_b
    .private_segment_fixed_size: 16
    .sgpr_count:     10
    .sgpr_spill_count: 0
    .symbol:         _ZN9rocsparseL18csrgemm_copy_scaleILj1024Ei21rocsparse_complex_numIdEEEvT0_NS_24const_host_device_scalarIT1_EEPKS5_PS5_b.kd
    .uniform_work_group_size: 1
    .uses_dynamic_stack: false
    .vgpr_count:     14
    .vgpr_spill_count: 0
    .wavefront_size: 32
  - .args:
      - .offset:         0
        .size:           8
        .value_kind:     by_value
      - .actual_access:  read_only
        .address_space:  global
        .offset:         8
        .size:           8
        .value_kind:     global_buffer
      - .actual_access:  write_only
        .address_space:  global
        .offset:         16
        .size:           8
        .value_kind:     global_buffer
      - .offset:         24
        .size:           4
        .value_kind:     by_value
      - .offset:         28
        .size:           4
        .value_kind:     by_value
    .group_segment_fixed_size: 0
    .kernarg_segment_align: 8
    .kernarg_segment_size: 32
    .language:       OpenCL C
    .language_version:
      - 2
      - 0
    .max_flat_workgroup_size: 1024
    .name:           _ZN9rocsparseL12csrgemm_copyILj1024EliEEvT0_PKT1_PS2_21rocsparse_index_base_S6_
    .private_segment_fixed_size: 0
    .sgpr_count:     10
    .sgpr_spill_count: 0
    .symbol:         _ZN9rocsparseL12csrgemm_copyILj1024EliEEvT0_PKT1_PS2_21rocsparse_index_base_S6_.kd
    .uniform_work_group_size: 1
    .uses_dynamic_stack: false
    .vgpr_count:     4
    .vgpr_spill_count: 0
    .wavefront_size: 32
  - .args:
      - .offset:         0
        .size:           8
        .value_kind:     by_value
      - .offset:         8
        .size:           8
        .value_kind:     by_value
      - .actual_access:  read_only
        .address_space:  global
        .offset:         16
        .size:           8
        .value_kind:     global_buffer
      - .actual_access:  write_only
        .address_space:  global
        .offset:         24
        .size:           8
        .value_kind:     global_buffer
      - .offset:         32
        .size:           1
        .value_kind:     by_value
    .group_segment_fixed_size: 0
    .kernarg_segment_align: 8
    .kernarg_segment_size: 36
    .language:       OpenCL C
    .language_version:
      - 2
      - 0
    .max_flat_workgroup_size: 1024
    .name:           _ZN9rocsparseL18csrgemm_copy_scaleILj1024ElfEEvT0_NS_24const_host_device_scalarIT1_EEPKS3_PS3_b
    .private_segment_fixed_size: 0
    .sgpr_count:     14
    .sgpr_spill_count: 0
    .symbol:         _ZN9rocsparseL18csrgemm_copy_scaleILj1024ElfEEvT0_NS_24const_host_device_scalarIT1_EEPKS3_PS3_b.kd
    .uniform_work_group_size: 1
    .uses_dynamic_stack: false
    .vgpr_count:     4
    .vgpr_spill_count: 0
    .wavefront_size: 32
  - .args:
      - .offset:         0
        .size:           8
        .value_kind:     by_value
      - .offset:         8
        .size:           8
        .value_kind:     by_value
      - .actual_access:  read_only
        .address_space:  global
        .offset:         16
        .size:           8
        .value_kind:     global_buffer
      - .actual_access:  write_only
        .address_space:  global
        .offset:         24
        .size:           8
        .value_kind:     global_buffer
      - .offset:         32
        .size:           1
        .value_kind:     by_value
    .group_segment_fixed_size: 0
    .kernarg_segment_align: 8
    .kernarg_segment_size: 36
    .language:       OpenCL C
    .language_version:
      - 2
      - 0
    .max_flat_workgroup_size: 1024
    .name:           _ZN9rocsparseL18csrgemm_copy_scaleILj1024EldEEvT0_NS_24const_host_device_scalarIT1_EEPKS3_PS3_b
    .private_segment_fixed_size: 0
    .sgpr_count:     10
    .sgpr_spill_count: 0
    .symbol:         _ZN9rocsparseL18csrgemm_copy_scaleILj1024EldEEvT0_NS_24const_host_device_scalarIT1_EEPKS3_PS3_b.kd
    .uniform_work_group_size: 1
    .uses_dynamic_stack: false
    .vgpr_count:     6
    .vgpr_spill_count: 0
    .wavefront_size: 32
  - .args:
      - .offset:         0
        .size:           8
        .value_kind:     by_value
      - .offset:         8
        .size:           8
        .value_kind:     by_value
      - .actual_access:  read_only
        .address_space:  global
        .offset:         16
        .size:           8
        .value_kind:     global_buffer
      - .actual_access:  write_only
        .address_space:  global
        .offset:         24
        .size:           8
        .value_kind:     global_buffer
      - .offset:         32
        .size:           1
        .value_kind:     by_value
    .group_segment_fixed_size: 0
    .kernarg_segment_align: 8
    .kernarg_segment_size: 36
    .language:       OpenCL C
    .language_version:
      - 2
      - 0
    .max_flat_workgroup_size: 1024
    .name:           _ZN9rocsparseL18csrgemm_copy_scaleILj1024El21rocsparse_complex_numIfEEEvT0_NS_24const_host_device_scalarIT1_EEPKS5_PS5_b
    .private_segment_fixed_size: 0
    .sgpr_count:     14
    .sgpr_spill_count: 0
    .symbol:         _ZN9rocsparseL18csrgemm_copy_scaleILj1024El21rocsparse_complex_numIfEEEvT0_NS_24const_host_device_scalarIT1_EEPKS5_PS5_b.kd
    .uniform_work_group_size: 1
    .uses_dynamic_stack: false
    .vgpr_count:     8
    .vgpr_spill_count: 0
    .wavefront_size: 32
  - .args:
      - .offset:         0
        .size:           8
        .value_kind:     by_value
      - .offset:         8
        .size:           16
        .value_kind:     by_value
      - .actual_access:  read_only
        .address_space:  global
        .offset:         24
        .size:           8
        .value_kind:     global_buffer
      - .actual_access:  write_only
        .address_space:  global
        .offset:         32
        .size:           8
        .value_kind:     global_buffer
      - .offset:         40
        .size:           1
        .value_kind:     by_value
    .group_segment_fixed_size: 0
    .kernarg_segment_align: 8
    .kernarg_segment_size: 44
    .language:       OpenCL C
    .language_version:
      - 2
      - 0
    .max_flat_workgroup_size: 1024
    .name:           _ZN9rocsparseL18csrgemm_copy_scaleILj1024El21rocsparse_complex_numIdEEEvT0_NS_24const_host_device_scalarIT1_EEPKS5_PS5_b
    .private_segment_fixed_size: 16
    .sgpr_count:     11
    .sgpr_spill_count: 0
    .symbol:         _ZN9rocsparseL18csrgemm_copy_scaleILj1024El21rocsparse_complex_numIdEEEvT0_NS_24const_host_device_scalarIT1_EEPKS5_PS5_b.kd
    .uniform_work_group_size: 1
    .uses_dynamic_stack: false
    .vgpr_count:     14
    .vgpr_spill_count: 0
    .wavefront_size: 32
  - .args:
      - .offset:         0
        .size:           4
        .value_kind:     by_value
      - .actual_access:  read_only
        .address_space:  global
        .offset:         8
        .size:           8
        .value_kind:     global_buffer
      - .actual_access:  write_only
        .address_space:  global
        .offset:         16
        .size:           8
        .value_kind:     global_buffer
      - .offset:         24
        .size:           4
        .value_kind:     by_value
      - .offset:         28
        .size:           4
        .value_kind:     by_value
    .group_segment_fixed_size: 0
    .kernarg_segment_align: 8
    .kernarg_segment_size: 32
    .language:       OpenCL C
    .language_version:
      - 2
      - 0
    .max_flat_workgroup_size: 1024
    .name:           _ZN9rocsparseL12csrgemm_copyILj1024EilEEvT0_PKT1_PS2_21rocsparse_index_base_S6_
    .private_segment_fixed_size: 0
    .sgpr_count:     12
    .sgpr_spill_count: 0
    .symbol:         _ZN9rocsparseL12csrgemm_copyILj1024EilEEvT0_PKT1_PS2_21rocsparse_index_base_S6_.kd
    .uniform_work_group_size: 1
    .uses_dynamic_stack: false
    .vgpr_count:     4
    .vgpr_spill_count: 0
    .wavefront_size: 32
  - .args:
      - .offset:         0
        .size:           8
        .value_kind:     by_value
      - .actual_access:  read_only
        .address_space:  global
        .offset:         8
        .size:           8
        .value_kind:     global_buffer
      - .actual_access:  write_only
        .address_space:  global
        .offset:         16
        .size:           8
        .value_kind:     global_buffer
      - .offset:         24
        .size:           4
        .value_kind:     by_value
      - .offset:         28
        .size:           4
        .value_kind:     by_value
    .group_segment_fixed_size: 0
    .kernarg_segment_align: 8
    .kernarg_segment_size: 32
    .language:       OpenCL C
    .language_version:
      - 2
      - 0
    .max_flat_workgroup_size: 1024
    .name:           _ZN9rocsparseL12csrgemm_copyILj1024EllEEvT0_PKT1_PS2_21rocsparse_index_base_S6_
    .private_segment_fixed_size: 0
    .sgpr_count:     10
    .sgpr_spill_count: 0
    .symbol:         _ZN9rocsparseL12csrgemm_copyILj1024EllEEvT0_PKT1_PS2_21rocsparse_index_base_S6_.kd
    .uniform_work_group_size: 1
    .uses_dynamic_stack: false
    .vgpr_count:     4
    .vgpr_spill_count: 0
    .wavefront_size: 32
amdhsa.target:   amdgcn-amd-amdhsa--gfx1250
amdhsa.version:
  - 1
  - 2
...

	.end_amdgpu_metadata
